;; amdgpu-corpus repo=ROCm/rocFFT kind=compiled arch=gfx1030 opt=O3
	.text
	.amdgcn_target "amdgcn-amd-amdhsa--gfx1030"
	.amdhsa_code_object_version 6
	.protected	bluestein_single_fwd_len153_dim1_sp_op_CI_CI ; -- Begin function bluestein_single_fwd_len153_dim1_sp_op_CI_CI
	.globl	bluestein_single_fwd_len153_dim1_sp_op_CI_CI
	.p2align	8
	.type	bluestein_single_fwd_len153_dim1_sp_op_CI_CI,@function
bluestein_single_fwd_len153_dim1_sp_op_CI_CI: ; @bluestein_single_fwd_len153_dim1_sp_op_CI_CI
; %bb.0:
	s_mov_b64 s[18:19], s[2:3]
	s_mov_b64 s[16:17], s[0:1]
	s_load_dwordx4 s[0:3], s[4:5], 0x28
	v_mul_u32_u24_e32 v1, 0xf10, v0
	s_add_u32 s16, s16, s7
	s_addc_u32 s17, s17, 0
	v_lshrrev_b32_e32 v1, 16, v1
	v_mad_u64_u32 v[48:49], null, s6, 7, v[1:2]
	v_mov_b32_e32 v49, 0
	s_waitcnt lgkmcnt(0)
	v_cmp_gt_u64_e32 vcc_lo, s[0:1], v[48:49]
	s_and_saveexec_b32 s0, vcc_lo
	s_cbranch_execz .LBB0_15
; %bb.1:
	v_mul_hi_u32 v2, 0x24924925, v48
	v_mul_lo_u16 v1, v1, 17
	s_clause 0x1
	s_load_dwordx2 s[6:7], s[4:5], 0x0
	s_load_dwordx2 s[12:13], s[4:5], 0x38
	v_sub_nc_u16 v0, v0, v1
	v_sub_nc_u32_e32 v3, v48, v2
	v_and_b32_e32 v68, 0xffff, v0
	v_cmp_gt_u16_e32 vcc_lo, 9, v0
	v_lshrrev_b32_e32 v3, 1, v3
	v_lshlrev_b32_e32 v66, 3, v68
	v_or_b32_e32 v219, 0x90, v68
	v_add_nc_u32_e32 v2, v3, v2
	v_lshrrev_b32_e32 v2, 2, v2
	v_mul_lo_u32 v2, v2, 7
	v_sub_nc_u32_e32 v1, v48, v2
	v_mul_u32_u24_e32 v67, 0x99, v1
	v_lshlrev_b32_e32 v69, 3, v67
	s_and_saveexec_b32 s1, vcc_lo
	s_cbranch_execz .LBB0_3
; %bb.2:
	s_load_dwordx2 s[8:9], s[4:5], 0x18
	v_lshl_add_u32 v78, v68, 3, v69
	v_add_nc_u32_e32 v79, v69, v66
	s_waitcnt lgkmcnt(0)
	s_load_dwordx4 s[8:11], s[8:9], 0x0
	s_clause 0xb
	global_load_dwordx2 v[2:3], v66, s[6:7]
	global_load_dwordx2 v[4:5], v66, s[6:7] offset:72
	global_load_dwordx2 v[6:7], v66, s[6:7] offset:144
	;; [unrolled: 1-line block ×11, first 2 shown]
	s_waitcnt lgkmcnt(0)
	v_mad_u64_u32 v[0:1], null, s10, v48, 0
	v_mad_u64_u32 v[10:11], null, s8, v68, 0
	s_mul_i32 s0, s9, 0x48
	s_mul_hi_u32 s10, s8, 0x48
	s_add_i32 s10, s10, s0
	s_waitcnt vmcnt(7)
	v_mad_u64_u32 v[31:32], null, s9, v68, v[11:12]
	s_clause 0x2
	global_load_dwordx2 v[32:33], v66, s[6:7] offset:864
	global_load_dwordx2 v[34:35], v66, s[6:7] offset:936
	;; [unrolled: 1-line block ×3, first 2 shown]
	v_mad_u64_u32 v[28:29], null, s11, v48, v[1:2]
	v_mad_u64_u32 v[29:30], null, s8, v219, 0
	s_mulk_i32 s8, 0x48
	v_mov_b32_e32 v11, v31
	v_mov_b32_e32 v1, v28
	;; [unrolled: 1-line block ×3, first 2 shown]
	v_lshlrev_b64 v[10:11], 3, v[10:11]
	v_lshlrev_b64 v[0:1], 3, v[0:1]
	v_mad_u64_u32 v[30:31], null, s9, v219, v[28:29]
	v_add_co_u32 v31, s0, s2, v0
	v_add_co_ci_u32_e64 v38, s0, s3, v1, s0
	v_add_co_u32 v0, s0, v31, v10
	v_add_co_ci_u32_e64 v1, s0, v38, v11, s0
	v_lshlrev_b64 v[10:11], 3, v[29:30]
	v_add_co_u32 v28, s0, v0, s8
	v_add_co_ci_u32_e64 v29, s0, s10, v1, s0
	global_load_dwordx2 v[0:1], v[0:1], off
	v_add_co_u32 v10, s0, v31, v10
	v_add_co_ci_u32_e64 v11, s0, v38, v11, s0
	v_add_co_u32 v30, s0, v28, s8
	v_add_co_ci_u32_e64 v31, s0, s10, v29, s0
	global_load_dwordx2 v[10:11], v[10:11], off
	v_add_co_u32 v38, s0, v30, s8
	v_add_co_ci_u32_e64 v39, s0, s10, v31, s0
	v_add_co_u32 v40, s0, v38, s8
	v_add_co_ci_u32_e64 v41, s0, s10, v39, s0
	s_clause 0x2
	global_load_dwordx2 v[28:29], v[28:29], off
	global_load_dwordx2 v[30:31], v[30:31], off
	;; [unrolled: 1-line block ×3, first 2 shown]
	v_add_co_u32 v42, s0, v40, s8
	v_add_co_ci_u32_e64 v43, s0, s10, v41, s0
	global_load_dwordx2 v[40:41], v[40:41], off
	v_add_co_u32 v44, s0, v42, s8
	v_add_co_ci_u32_e64 v45, s0, s10, v43, s0
	global_load_dwordx2 v[42:43], v[42:43], off
	;; [unrolled: 3-line block ×11, first 2 shown]
	s_clause 0x1
	global_load_dwordx2 v[70:71], v66, s[6:7] offset:1008
	global_load_dwordx2 v[72:73], v66, s[6:7] offset:1080
	global_load_dwordx2 v[63:64], v[63:64], off
	s_waitcnt vmcnt(18)
	v_mul_f32_e32 v74, v1, v3
	v_mul_f32_e32 v75, v0, v3
	v_fmac_f32_e32 v74, v0, v2
	v_fma_f32 v75, v1, v2, -v75
	s_waitcnt vmcnt(17)
	v_mul_f32_e32 v3, v11, v37
	v_mul_f32_e32 v37, v10, v37
	ds_write_b64 v78, v[74:75]
	v_fmac_f32_e32 v3, v10, v36
	s_waitcnt vmcnt(16)
	v_mul_f32_e32 v1, v28, v5
	v_mul_f32_e32 v0, v29, v5
	s_waitcnt vmcnt(15)
	v_mul_f32_e32 v2, v30, v7
	v_mul_f32_e32 v76, v31, v7
	v_fma_f32 v1, v29, v4, -v1
	v_fmac_f32_e32 v0, v28, v4
	v_fma_f32 v77, v31, v6, -v2
	v_fmac_f32_e32 v76, v30, v6
	s_waitcnt vmcnt(14)
	v_mul_f32_e32 v4, v39, v9
	v_mul_f32_e32 v2, v38, v9
	s_waitcnt vmcnt(13)
	v_mul_f32_e32 v6, v41, v13
	ds_write2_b64 v79, v[0:1], v[76:77] offset0:9 offset1:18
	v_fmac_f32_e32 v4, v38, v8
	v_fma_f32 v5, v39, v8, -v2
	v_mul_f32_e32 v1, v40, v13
	s_waitcnt vmcnt(12)
	v_mul_f32_e32 v2, v42, v15
	v_mul_f32_e32 v0, v43, v15
	s_waitcnt vmcnt(11)
	v_mul_f32_e32 v8, v45, v17
	v_mul_f32_e32 v9, v44, v17
	v_fmac_f32_e32 v6, v40, v12
	v_fma_f32 v7, v41, v12, -v1
	v_fma_f32 v1, v43, v14, -v2
	v_fmac_f32_e32 v0, v42, v14
	v_fmac_f32_e32 v8, v44, v16
	v_fma_f32 v9, v45, v16, -v9
	s_waitcnt vmcnt(10)
	v_mul_f32_e32 v2, v46, v19
	ds_write2_b64 v79, v[4:5], v[6:7] offset0:27 offset1:36
	v_mul_f32_e32 v12, v47, v19
	s_waitcnt vmcnt(9)
	v_mul_f32_e32 v5, v50, v21
	ds_write2_b64 v79, v[0:1], v[8:9] offset0:45 offset1:54
	v_fma_f32 v13, v47, v18, -v2
	v_mul_f32_e32 v1, v49, v21
	s_waitcnt vmcnt(8)
	v_mul_f32_e32 v2, v51, v23
	v_mul_f32_e32 v0, v52, v23
	v_fmac_f32_e32 v12, v46, v18
	s_waitcnt vmcnt(7)
	v_mul_f32_e32 v4, v53, v25
	v_fma_f32 v6, v50, v20, -v1
	v_fma_f32 v1, v52, v22, -v2
	v_mul_f32_e32 v7, v54, v25
	v_fmac_f32_e32 v5, v49, v20
	v_fma_f32 v8, v54, v24, -v4
	s_waitcnt vmcnt(6)
	v_mul_f32_e32 v2, v55, v27
	v_mul_f32_e32 v9, v56, v27
	v_fmac_f32_e32 v0, v51, v22
	v_fmac_f32_e32 v7, v53, v24
	s_waitcnt vmcnt(5)
	v_mul_f32_e32 v4, v57, v33
	v_mul_f32_e32 v14, v58, v33
	v_fma_f32 v10, v56, v26, -v2
	v_fmac_f32_e32 v9, v55, v26
	s_waitcnt vmcnt(4)
	v_mul_f32_e32 v16, v60, v35
	v_fma_f32 v15, v58, v32, -v4
	v_mul_f32_e32 v2, v59, v35
	s_waitcnt vmcnt(2)
	v_mul_f32_e32 v18, v62, v71
	v_mul_f32_e32 v4, v61, v71
	s_waitcnt vmcnt(0)
	v_mul_f32_e32 v20, v64, v73
	v_mul_f32_e32 v21, v63, v73
	v_fmac_f32_e32 v14, v57, v32
	v_fmac_f32_e32 v16, v59, v34
	v_fma_f32 v17, v60, v34, -v2
	v_fmac_f32_e32 v18, v61, v70
	v_fma_f32 v19, v62, v70, -v4
	;; [unrolled: 2-line block ×3, first 2 shown]
	v_fma_f32 v4, v11, v36, -v37
	ds_write2_b64 v79, v[12:13], v[5:6] offset0:63 offset1:72
	ds_write2_b64 v79, v[0:1], v[7:8] offset0:81 offset1:90
	;; [unrolled: 1-line block ×5, first 2 shown]
.LBB0_3:
	s_or_b32 exec_lo, exec_lo, s1
	s_clause 0x1
	s_load_dwordx2 s[0:1], s[4:5], 0x20
	s_load_dwordx2 s[4:5], s[4:5], 0x8
	v_mov_b32_e32 v16, 0
	v_mov_b32_e32 v17, 0
	s_waitcnt lgkmcnt(0)
	s_barrier
	buffer_gl0_inv
                                        ; implicit-def: $vgpr27
                                        ; implicit-def: $vgpr20
                                        ; implicit-def: $vgpr28
                                        ; implicit-def: $vgpr32
                                        ; implicit-def: $vgpr12
                                        ; implicit-def: $vgpr38
                                        ; implicit-def: $vgpr42
                                        ; implicit-def: $vgpr46
	s_and_saveexec_b32 s2, vcc_lo
	s_cbranch_execz .LBB0_5
; %bb.4:
	v_lshl_add_u32 v0, v67, 3, v66
	ds_read2_b64 v[16:19], v0 offset1:9
	ds_read2_b64 v[44:47], v0 offset0:18 offset1:27
	ds_read2_b64 v[40:43], v0 offset0:36 offset1:45
	;; [unrolled: 1-line block ×7, first 2 shown]
	ds_read_b64 v[12:13], v0 offset:1152
.LBB0_5:
	s_or_b32 exec_lo, exec_lo, s2
	s_waitcnt lgkmcnt(0)
	v_sub_f32_e32 v9, v19, v13
	v_add_f32_e32 v89, v12, v18
	v_sub_f32_e32 v8, v18, v12
	v_sub_f32_e32 v14, v45, v35
	v_add_f32_e32 v90, v13, v19
	v_mul_f32_e32 v52, 0xbeb8f4ab, v9
	v_add_f32_e32 v91, v34, v44
	v_sub_f32_e32 v11, v44, v34
	v_mul_f32_e32 v54, 0xbeb8f4ab, v8
	v_mul_f32_e32 v51, 0xbf2c7751, v14
	v_fmamk_f32 v0, v89, 0x3f6eb680, v52
	v_sub_f32_e32 v70, v47, v33
	v_add_f32_e32 v93, v35, v45
	v_mul_f32_e32 v53, 0xbf2c7751, v11
	v_fma_f32 v1, 0x3f6eb680, v90, -v54
	v_fmamk_f32 v2, v91, 0x3f3d2fb0, v51
	v_add_f32_e32 v0, v0, v16
	v_sub_f32_e32 v15, v46, v32
	v_add_f32_e32 v105, v32, v46
	v_mul_f32_e32 v55, 0xbf65296c, v70
	v_sub_f32_e32 v137, v41, v31
	v_fma_f32 v3, 0x3f3d2fb0, v93, -v53
	v_add_f32_e32 v1, v1, v17
	v_add_f32_e32 v0, v2, v0
	;; [unrolled: 1-line block ×3, first 2 shown]
	v_mul_f32_e32 v56, 0xbf65296c, v15
	v_fmamk_f32 v2, v105, 0x3ee437d1, v55
	v_sub_f32_e32 v138, v40, v30
	v_add_f32_e32 v97, v30, v40
	v_mul_f32_e32 v57, 0xbf7ee86f, v137
	v_sub_f32_e32 v139, v43, v29
	v_add_f32_e32 v1, v3, v1
	v_fma_f32 v3, 0x3ee437d1, v106, -v56
	v_add_f32_e32 v101, v31, v41
	v_mul_f32_e32 v58, 0xbf7ee86f, v138
	v_add_f32_e32 v0, v2, v0
	v_fmamk_f32 v2, v97, 0x3dbcf732, v57
	v_add_f32_e32 v103, v28, v42
	v_mul_f32_e32 v59, 0xbf763a35, v139
	v_sub_f32_e32 v140, v42, v28
	v_sub_f32_e32 v149, v37, v23
	v_add_f32_e32 v1, v3, v1
	v_fma_f32 v3, 0x3dbcf732, v101, -v58
	v_add_f32_e32 v0, v2, v0
	v_fmamk_f32 v2, v103, 0xbe8c1d8e, v59
	v_add_f32_e32 v115, v29, v43
	v_mul_f32_e32 v61, 0xbf763a35, v140
	v_add_f32_e32 v104, v22, v36
	v_mul_f32_e32 v60, 0xbf4c4adb, v149
	v_sub_f32_e32 v150, v36, v22
	v_sub_f32_e32 v158, v39, v21
	v_add_f32_e32 v1, v3, v1
	v_add_f32_e32 v0, v2, v0
	v_fma_f32 v2, 0xbe8c1d8e, v115, -v61
	v_fmamk_f32 v3, v104, 0xbf1a4643, v60
	v_add_f32_e32 v117, v23, v37
	v_mul_f32_e32 v63, 0xbf4c4adb, v150
	v_add_f32_e32 v107, v20, v38
	v_mul_f32_e32 v62, 0xbf06c442, v158
	v_sub_f32_e32 v159, v38, v20
	v_add_f32_e32 v1, v2, v1
	v_fma_f32 v2, 0xbf1a4643, v117, -v63
	v_add_f32_e32 v0, v3, v0
	v_fmamk_f32 v3, v107, 0xbf59a7d5, v62
	v_add_f32_e32 v108, v21, v39
	v_mul_f32_e32 v64, 0xbf06c442, v159
	v_sub_f32_e32 v168, v25, v27
	v_mul_f32_e32 v77, 0xbf2c7751, v9
	v_add_f32_e32 v1, v2, v1
	v_add_f32_e32 v0, v3, v0
	v_fma_f32 v2, 0xbf59a7d5, v108, -v64
	v_add_f32_e32 v119, v26, v24
	v_mul_f32_e32 v71, 0xbe3c28d5, v168
	v_fmamk_f32 v3, v89, 0x3f3d2fb0, v77
	v_mul_f32_e32 v78, 0xbf7ee86f, v14
	v_mul_f32_e32 v85, 0xbf2c7751, v8
	v_add_f32_e32 v1, v2, v1
	v_fmamk_f32 v2, v119, 0xbf7ba420, v71
	v_add_f32_e32 v3, v3, v16
	v_fmamk_f32 v4, v91, 0x3dbcf732, v78
	v_fma_f32 v5, 0x3f3d2fb0, v90, -v85
	v_mul_f32_e32 v87, 0xbf7ee86f, v11
	v_mul_f32_e32 v79, 0xbf4c4adb, v70
	v_add_f32_e32 v49, v2, v0
	v_add_f32_e32 v0, v4, v3
	;; [unrolled: 1-line block ×3, first 2 shown]
	v_fma_f32 v3, 0x3dbcf732, v93, -v87
	v_fmamk_f32 v4, v105, 0xbf1a4643, v79
	v_mul_f32_e32 v83, 0xbf4c4adb, v15
	v_mul_f32_e32 v81, 0xbe3c28d5, v137
	;; [unrolled: 1-line block ×3, first 2 shown]
	v_add_f32_e32 v2, v3, v2
	v_add_f32_e32 v0, v4, v0
	v_fma_f32 v3, 0xbf1a4643, v106, -v83
	v_fmamk_f32 v4, v97, 0xbf7ba420, v81
	v_mul_f32_e32 v82, 0x3f06c442, v139
	v_mul_f32_e32 v86, 0x3f06c442, v140
	;; [unrolled: 1-line block ×3, first 2 shown]
	v_add_f32_e32 v2, v3, v2
	v_add_f32_e32 v0, v4, v0
	v_fma_f32 v3, 0xbf7ba420, v101, -v84
	v_fmamk_f32 v4, v103, 0xbf59a7d5, v82
	v_sub_f32_e32 v171, v24, v26
	v_mul_f32_e32 v88, 0x3f763a35, v150
	v_mul_f32_e32 v98, 0xbf65296c, v9
	v_add_f32_e32 v2, v3, v2
	v_fma_f32 v3, 0xbf59a7d5, v115, -v86
	v_add_f32_e32 v0, v4, v0
	v_fmamk_f32 v4, v104, 0xbe8c1d8e, v73
	v_add_f32_e32 v120, v27, v25
	v_mul_f32_e32 v72, 0xbe3c28d5, v171
	v_add_f32_e32 v2, v3, v2
	v_fma_f32 v3, 0xbe8c1d8e, v117, -v88
	v_add_f32_e32 v0, v4, v0
	v_mul_f32_e32 v74, 0x3f65296c, v158
	v_mul_f32_e32 v76, 0x3f65296c, v159
	v_fmamk_f32 v4, v89, 0x3ee437d1, v98
	v_mul_f32_e32 v99, 0xbf4c4adb, v14
	v_fma_f32 v5, 0xbf7ba420, v120, -v72
	v_add_f32_e32 v2, v3, v2
	v_fmamk_f32 v3, v107, 0x3ee437d1, v74
	v_fma_f32 v6, 0x3ee437d1, v108, -v76
	v_add_f32_e32 v4, v4, v16
	v_fmamk_f32 v7, v91, 0xbf1a4643, v99
	v_mul_f32_e32 v100, 0x3e3c28d5, v70
	v_mul_f32_e32 v110, 0xbf65296c, v8
	v_add_f32_e32 v50, v5, v1
	v_add_f32_e32 v0, v3, v0
	;; [unrolled: 1-line block ×4, first 2 shown]
	v_fmamk_f32 v3, v105, 0xbf7ba420, v100
	v_mul_f32_e32 v92, 0x3f763a35, v137
	v_fma_f32 v5, 0x3ee437d1, v90, -v110
	v_mul_f32_e32 v111, 0xbf4c4adb, v11
	v_mul_f32_e32 v94, 0x3f2c7751, v139
	v_add_f32_e32 v2, v3, v2
	v_fmamk_f32 v3, v97, 0xbe8c1d8e, v92
	v_add_f32_e32 v5, v5, v17
	v_fma_f32 v6, 0xbf1a4643, v93, -v111
	v_mul_f32_e32 v112, 0x3e3c28d5, v15
	v_mul_f32_e32 v75, 0x3eb8f4ab, v168
	v_add_f32_e32 v2, v3, v2
	v_fmamk_f32 v3, v103, 0x3f3d2fb0, v94
	v_mul_f32_e32 v95, 0xbeb8f4ab, v149
	v_add_f32_e32 v5, v6, v5
	v_fma_f32 v6, 0xbf7ba420, v106, -v112
	v_mul_f32_e32 v113, 0x3f763a35, v138
	v_mul_f32_e32 v80, 0x3eb8f4ab, v171
	v_fmamk_f32 v4, v119, 0x3f6eb680, v75
	v_add_f32_e32 v2, v3, v2
	v_fmamk_f32 v3, v104, 0x3f6eb680, v95
	v_mul_f32_e32 v96, 0xbf7ee86f, v158
	v_add_f32_e32 v5, v6, v5
	v_fma_f32 v6, 0xbe8c1d8e, v101, -v113
	v_mul_f32_e32 v114, 0x3f2c7751, v140
	v_fma_f32 v7, 0x3f6eb680, v120, -v80
	v_add_f32_e32 v3, v3, v2
	v_fmamk_f32 v10, v107, 0x3dbcf732, v96
	v_add_f32_e32 v2, v4, v0
	v_mul_f32_e32 v102, 0xbf06c442, v168
	v_add_f32_e32 v4, v6, v5
	v_fma_f32 v5, 0x3f3d2fb0, v115, -v114
	v_mul_f32_e32 v109, 0xbeb8f4ab, v150
	v_mul_f32_e32 v123, 0xbf7ee86f, v9
	v_add_f32_e32 v0, v10, v3
	v_fmamk_f32 v6, v119, 0xbf59a7d5, v102
	v_add_f32_e32 v3, v7, v1
	v_add_f32_e32 v1, v5, v4
	v_fma_f32 v4, 0x3f6eb680, v117, -v109
	v_fmamk_f32 v5, v89, 0x3dbcf732, v123
	v_mul_f32_e32 v124, 0xbe3c28d5, v14
	v_mul_f32_e32 v132, 0xbf7ee86f, v8
	v_add_f32_e32 v0, v6, v0
	v_add_f32_e32 v1, v4, v1
	v_mul_f32_e32 v116, 0xbf7ee86f, v159
	v_add_f32_e32 v4, v5, v16
	v_fmamk_f32 v5, v91, 0xbf7ba420, v124
	v_fma_f32 v6, 0x3dbcf732, v90, -v132
	v_mul_f32_e32 v133, 0xbe3c28d5, v11
	v_mul_f32_e32 v121, 0x3f763a35, v70
	v_fma_f32 v7, 0x3dbcf732, v108, -v116
	v_add_f32_e32 v4, v5, v4
	v_add_f32_e32 v5, v6, v17
	v_fma_f32 v6, 0xbf7ba420, v93, -v133
	v_fmamk_f32 v10, v105, 0xbe8c1d8e, v121
	v_mul_f32_e32 v134, 0x3f763a35, v15
	v_mul_f32_e32 v122, 0x3eb8f4ab, v137
	v_add_f32_e32 v1, v7, v1
	v_add_f32_e32 v5, v6, v5
	;; [unrolled: 1-line block ×3, first 2 shown]
	v_fma_f32 v6, 0xbe8c1d8e, v106, -v134
	v_fmamk_f32 v7, v97, 0x3f6eb680, v122
	v_mul_f32_e32 v131, 0x3eb8f4ab, v138
	v_mul_f32_e32 v125, 0xbf65296c, v139
	;; [unrolled: 1-line block ×3, first 2 shown]
	v_add_f32_e32 v5, v6, v5
	v_add_f32_e32 v4, v7, v4
	v_fma_f32 v6, 0x3f6eb680, v101, -v131
	v_fmamk_f32 v7, v103, 0x3ee437d1, v125
	v_mul_f32_e32 v126, 0xbf06c442, v149
	v_mul_f32_e32 v130, 0xbf06c442, v150
	;; [unrolled: 1-line block ×3, first 2 shown]
	v_add_f32_e32 v5, v6, v5
	v_fma_f32 v6, 0x3ee437d1, v115, -v128
	v_add_f32_e32 v4, v7, v4
	v_fmamk_f32 v7, v104, 0xbf59a7d5, v126
	v_mul_f32_e32 v127, 0x3f4c4adb, v158
	v_mul_f32_e32 v143, 0x3f06c442, v14
	v_add_f32_e32 v5, v6, v5
	v_fma_f32 v6, 0xbf59a7d5, v117, -v130
	v_add_f32_e32 v4, v7, v4
	v_fmamk_f32 v7, v89, 0xbe8c1d8e, v142
	v_fmamk_f32 v136, v91, 0xbf59a7d5, v143
	v_mul_f32_e32 v144, 0x3f2c7751, v70
	v_add_f32_e32 v5, v6, v5
	v_fmamk_f32 v6, v107, 0xbf1a4643, v127
	v_add_f32_e32 v7, v7, v16
	v_mul_f32_e32 v145, 0xbf65296c, v137
	v_mul_f32_e32 v154, 0xbf763a35, v8
	;; [unrolled: 1-line block ×3, first 2 shown]
	v_add_f32_e32 v4, v6, v4
	v_add_f32_e32 v6, v136, v7
	v_fmamk_f32 v7, v105, 0x3f3d2fb0, v144
	v_mul_f32_e32 v148, 0xbe3c28d5, v139
	v_fma_f32 v141, 0xbe8c1d8e, v90, -v154
	v_mul_f32_e32 v155, 0x3f06c442, v11
	v_fma_f32 v10, 0xbf59a7d5, v120, -v118
	v_add_f32_e32 v6, v7, v6
	v_fmamk_f32 v7, v97, 0x3ee437d1, v145
	v_mul_f32_e32 v135, 0x3f4c4adb, v159
	v_mul_f32_e32 v146, 0x3f7ee86f, v149
	v_add_f32_e32 v141, v141, v17
	v_fma_f32 v152, 0xbf59a7d5, v93, -v155
	v_add_f32_e32 v6, v7, v6
	v_fmamk_f32 v7, v103, 0xbf7ba420, v148
	v_mul_f32_e32 v151, 0x3f2c7751, v15
	v_add_f32_e32 v1, v10, v1
	v_fma_f32 v10, 0xbf1a4643, v108, -v135
	v_mul_f32_e32 v129, 0x3f2c7751, v168
	v_add_f32_e32 v6, v7, v6
	v_fmamk_f32 v7, v104, 0x3dbcf732, v146
	v_mul_f32_e32 v147, 0xbeb8f4ab, v158
	v_add_f32_e32 v153, v152, v141
	v_fma_f32 v157, 0x3f3d2fb0, v106, -v151
	v_mul_f32_e32 v152, 0xbf65296c, v138
	v_add_f32_e32 v5, v10, v5
	v_mul_f32_e32 v136, 0x3f2c7751, v171
	v_fmamk_f32 v10, v119, 0x3f3d2fb0, v129
	v_add_f32_e32 v7, v7, v6
	v_fmamk_f32 v160, v107, 0x3f6eb680, v147
	v_mul_f32_e32 v141, 0xbf4c4adb, v168
	v_add_f32_e32 v157, v157, v153
	v_fma_f32 v161, 0x3ee437d1, v101, -v152
	v_mul_f32_e32 v153, 0xbe3c28d5, v140
	v_fma_f32 v156, 0x3f3d2fb0, v120, -v136
	v_add_f32_e32 v6, v10, v4
	v_add_f32_e32 v4, v160, v7
	v_fmamk_f32 v10, v119, 0xbf1a4643, v141
	v_add_f32_e32 v157, v161, v157
	v_fma_f32 v160, 0xbf7ba420, v115, -v153
	v_mul_f32_e32 v164, 0xbf4c4adb, v9
	v_mul_f32_e32 v170, 0xbf4c4adb, v8
	v_add_f32_e32 v7, v156, v5
	v_add_f32_e32 v4, v10, v4
	;; [unrolled: 1-line block ×3, first 2 shown]
	v_mul_f32_e32 v156, 0x3f7ee86f, v150
	v_fmamk_f32 v10, v89, 0xbf1a4643, v164
	v_mul_f32_e32 v166, 0x3f763a35, v14
	v_fma_f32 v157, 0xbf1a4643, v90, -v170
	v_mul_f32_e32 v173, 0x3f763a35, v11
	v_fma_f32 v160, 0x3dbcf732, v117, -v156
	v_add_f32_e32 v10, v10, v16
	v_fmamk_f32 v161, v91, 0xbe8c1d8e, v166
	v_add_f32_e32 v157, v157, v17
	v_fma_f32 v162, 0xbe8c1d8e, v93, -v173
	v_mul_f32_e32 v163, 0xbeb8f4ab, v70
	v_mul_f32_e32 v172, 0xbeb8f4ab, v15
	v_add_f32_e32 v5, v160, v5
	v_add_f32_e32 v10, v161, v10
	;; [unrolled: 1-line block ×3, first 2 shown]
	v_fmamk_f32 v162, v105, 0x3f6eb680, v163
	v_fma_f32 v165, 0x3f6eb680, v106, -v172
	v_mul_f32_e32 v160, 0xbf06c442, v137
	v_mul_f32_e32 v174, 0xbf06c442, v138
	;; [unrolled: 1-line block ×3, first 2 shown]
	v_add_f32_e32 v10, v162, v10
	v_add_f32_e32 v162, v165, v161
	v_fmamk_f32 v165, v97, 0xbf59a7d5, v160
	v_fma_f32 v167, 0xbf59a7d5, v101, -v174
	v_mul_f32_e32 v161, 0x3f7ee86f, v139
	v_fma_f32 v177, 0x3dbcf732, v115, -v175
	v_mul_f32_e32 v157, 0xbeb8f4ab, v159
	v_add_f32_e32 v10, v165, v10
	v_add_f32_e32 v165, v167, v162
	v_fmamk_f32 v167, v103, 0x3dbcf732, v161
	v_mul_f32_e32 v162, 0xbf2c7751, v149
	v_mul_f32_e32 v176, 0xbf2c7751, v150
	;; [unrolled: 1-line block ×3, first 2 shown]
	v_fma_f32 v169, 0x3f6eb680, v108, -v157
	v_add_f32_e32 v10, v167, v10
	v_add_f32_e32 v167, v177, v165
	v_fmamk_f32 v177, v104, 0x3f3d2fb0, v162
	v_fma_f32 v179, 0x3f3d2fb0, v117, -v176
	v_mul_f32_e32 v186, 0x3f65296c, v14
	v_add_f32_e32 v5, v169, v5
	v_mul_f32_e32 v169, 0xbe3c28d5, v158
	v_add_f32_e32 v10, v177, v10
	v_fmamk_f32 v177, v89, 0xbf59a7d5, v182
	v_mul_f32_e32 v178, 0xbe3c28d5, v159
	v_add_f32_e32 v180, v179, v167
	v_fmamk_f32 v184, v91, 0x3ee437d1, v186
	;; [unrolled: 3-line block ×3, first 2 shown]
	v_fma_f32 v183, 0xbf7ba420, v108, -v178
	v_mul_f32_e32 v189, 0xbf06c442, v8
	v_fmamk_f32 v188, v105, 0x3dbcf732, v185
	v_add_f32_e32 v184, v184, v179
	v_mul_f32_e32 v179, 0x3f4c4adb, v137
	v_add_f32_e32 v10, v181, v10
	v_add_f32_e32 v205, v183, v180
	v_mul_f32_e32 v183, 0xbeb8f4ab, v139
	v_add_f32_e32 v180, v188, v184
	v_fmamk_f32 v181, v97, 0xbf1a4643, v179
	v_fma_f32 v184, 0xbf59a7d5, v90, -v189
	v_mul_f32_e32 v191, 0x3f65296c, v11
	v_mul_f32_e32 v165, 0xbf4c4adb, v171
	v_fmamk_f32 v188, v103, 0x3f6eb680, v183
	v_add_f32_e32 v180, v181, v180
	v_mul_f32_e32 v181, 0xbe3c28d5, v149
	v_add_f32_e32 v184, v184, v17
	v_fma_f32 v193, 0x3ee437d1, v93, -v191
	v_mul_f32_e32 v190, 0xbf7ee86f, v15
	v_mul_f32_e32 v167, 0x3f65296c, v168
	v_fma_f32 v187, 0xbf1a4643, v120, -v165
	v_add_f32_e32 v180, v188, v180
	v_fmamk_f32 v194, v104, 0xbf7ba420, v181
	v_add_f32_e32 v193, v193, v184
	v_fma_f32 v195, 0x3dbcf732, v106, -v190
	v_mul_f32_e32 v188, 0x3f4c4adb, v138
	v_mul_f32_e32 v184, 0x3f2c7751, v158
	v_fmamk_f32 v192, v119, 0x3ee437d1, v167
	v_add_f32_e32 v5, v187, v5
	v_add_f32_e32 v194, v194, v180
	;; [unrolled: 1-line block ×3, first 2 shown]
	v_fma_f32 v195, 0xbf1a4643, v101, -v188
	v_mul_f32_e32 v187, 0xbeb8f4ab, v140
	v_fmamk_f32 v196, v107, 0x3f3d2fb0, v184
	v_add_f32_e32 v10, v192, v10
	v_mul_f32_e32 v199, 0xbe3c28d5, v8
	v_add_f32_e32 v192, v195, v193
	v_fma_f32 v193, 0x3f6eb680, v115, -v187
	v_add_f32_e32 v207, v196, v194
	v_mul_f32_e32 v196, 0xbe3c28d5, v9
	v_mul_f32_e32 v197, 0x3eb8f4ab, v14
	v_fma_f32 v14, 0xbf7ba420, v90, -v199
	v_add_f32_e32 v8, v193, v192
	v_mul_f32_e32 v192, 0xbe3c28d5, v150
	v_fmamk_f32 v193, v89, 0xbf7ba420, v196
	v_mul_f32_e32 v200, 0x3eb8f4ab, v11
	v_fmamk_f32 v194, v91, 0x3f6eb680, v197
	v_add_f32_e32 v14, v14, v17
	v_fma_f32 v11, 0xbf7ba420, v117, -v192
	v_add_f32_e32 v193, v193, v16
	v_fma_f32 v195, 0x3f6eb680, v93, -v200
	v_mul_f32_e32 v198, 0xbf06c442, v70
	v_mul_f32_e32 v201, 0xbf06c442, v15
	v_add_f32_e32 v8, v11, v8
	v_add_f32_e32 v11, v194, v193
	v_add_f32_e32 v14, v195, v14
	v_fmamk_f32 v15, v105, 0xbf59a7d5, v198
	v_fma_f32 v70, 0xbf59a7d5, v106, -v201
	v_mul_f32_e32 v194, 0x3f2c7751, v137
	v_mul_f32_e32 v203, 0x3f2c7751, v138
	v_mul_f32_e32 v193, 0x3f2c7751, v159
	v_add_f32_e32 v11, v15, v11
	v_add_f32_e32 v14, v70, v14
	v_fmamk_f32 v15, v97, 0x3f3d2fb0, v194
	v_fma_f32 v70, 0x3f3d2fb0, v101, -v203
	v_mul_f32_e32 v195, 0xbf4c4adb, v139
	v_mul_f32_e32 v204, 0xbf4c4adb, v140
	v_fma_f32 v137, 0x3f3d2fb0, v108, -v193
	v_add_f32_e32 v11, v15, v11
	v_add_f32_e32 v14, v70, v14
	v_fmamk_f32 v15, v103, 0xbf1a4643, v195
	v_fma_f32 v70, 0xbf1a4643, v115, -v204
	v_mul_f32_e32 v149, 0x3f65296c, v149
	v_mul_f32_e32 v202, 0x3f65296c, v150
	v_add_f32_e32 v137, v137, v8
	v_add_f32_e32 v8, v15, v11
	;; [unrolled: 1-line block ×3, first 2 shown]
	v_fmamk_f32 v14, v104, 0x3ee437d1, v149
	v_fma_f32 v15, 0x3ee437d1, v117, -v202
	v_mul_f32_e32 v150, 0xbf763a35, v158
	v_mul_f32_e32 v159, 0xbf763a35, v159
	;; [unrolled: 1-line block ×5, first 2 shown]
	v_add_f32_e32 v8, v14, v8
	v_add_f32_e32 v11, v15, v11
	v_fmamk_f32 v14, v107, 0xbe8c1d8e, v150
	v_fma_f32 v15, 0xbe8c1d8e, v108, -v159
	v_mul_f32_e32 v158, 0x3f7ee86f, v168
	v_mul_f32_e32 v168, 0x3f7ee86f, v171
	v_fma_f32 v206, 0x3ee437d1, v120, -v177
	v_fmamk_f32 v9, v119, 0xbe8c1d8e, v180
	v_fma_f32 v70, 0xbe8c1d8e, v120, -v140
	v_add_f32_e32 v14, v14, v8
	v_add_f32_e32 v15, v15, v11
	v_fmamk_f32 v138, v119, 0x3dbcf732, v158
	v_fma_f32 v139, 0x3dbcf732, v120, -v168
	v_add_f32_e32 v11, v206, v205
	v_add_f32_e32 v8, v9, v207
	;; [unrolled: 1-line block ×5, first 2 shown]
	v_mul_lo_u16 v70, v68, 17
	s_barrier
	buffer_gl0_inv
	s_and_saveexec_b32 s2, vcc_lo
	s_cbranch_execz .LBB0_7
; %bb.6:
	v_add_f32_e32 v19, v19, v17
	v_mul_f32_e32 v65, 0x3f6eb680, v89
	v_mul_f32_e32 v216, 0xbf7ba420, v90
	;; [unrolled: 1-line block ×4, first 2 shown]
	v_add_f32_e32 v19, v45, v19
	buffer_store_dword v65, off, s[16:19], 0 ; 4-byte Folded Spill
	v_add_f32_e32 v199, v199, v216
	v_add_f32_e32 v200, v200, v230
	v_mul_f32_e32 v215, 0xbf7ba420, v89
	v_add_f32_e32 v19, v47, v19
	v_mul_f32_e32 v229, 0x3f6eb680, v91
	;; [unrolled: 2-line block ×3, first 2 shown]
	v_sub_f32_e32 v196, v215, v196
	v_add_f32_e32 v19, v41, v19
	v_mul_f32_e32 v214, 0xbf59a7d5, v90
	v_add_f32_e32 v199, v200, v199
	v_add_f32_e32 v200, v201, v244
	v_mul_f32_e32 v201, 0x3f3d2fb0, v101
	v_add_f32_e32 v19, v43, v19
	buffer_load_dword v43, off, s[16:19], 0 ; 4-byte Folded Reload
	v_mul_f32_e32 v243, 0xbf59a7d5, v105
	v_add_f32_e32 v199, v200, v199
	v_add_f32_e32 v200, v203, v201
	v_mul_f32_e32 v201, 0xbf1a4643, v115
	v_add_f32_e32 v202, v202, v254
	v_mul_f32_e32 v254, 0xbe8c1d8e, v108
	v_sub_f32_e32 v197, v229, v197
	v_add_f32_e32 v199, v200, v199
	v_add_f32_e32 v200, v204, v201
	;; [unrolled: 1-line block ×3, first 2 shown]
	v_mul_f32_e32 v139, 0x3f3d2fb0, v89
	v_mul_f32_e32 v205, 0x3ee437d1, v89
	;; [unrolled: 1-line block ×3, first 2 shown]
	v_add_f32_e32 v199, v200, v199
	v_mul_f32_e32 v209, 0xbe8c1d8e, v89
	v_mul_f32_e32 v211, 0xbf1a4643, v89
	v_mul_f32_e32 v213, 0xbf59a7d5, v89
	v_mul_f32_e32 v137, 0x3f3d2fb0, v91
	v_mul_f32_e32 v217, 0x3dbcf732, v91
	v_mov_b32_e32 v89, v51
	v_mul_f32_e32 v51, 0xbf1a4643, v91
	v_mul_f32_e32 v221, 0xbf7ba420, v91
	;; [unrolled: 1-line block ×21, first 2 shown]
	v_add_f32_e32 v199, v202, v199
	v_add_f32_e32 v159, v159, v254
	v_add_f32_e32 v196, v197, v196
	v_sub_f32_e32 v198, v243, v198
	v_add_f32_e32 v189, v189, v214
	v_mul_f32_e32 v242, 0x3dbcf732, v106
	v_mul_f32_e32 v203, 0xbe8c1d8e, v103
	;; [unrolled: 1-line block ×6, first 2 shown]
	v_add_f32_e32 v159, v159, v199
	v_mul_f32_e32 v199, 0x3dbcf732, v103
	v_add_f32_e32 v196, v198, v196
	v_mul_f32_e32 v198, 0x3f6eb680, v103
	v_mul_f32_e32 v103, 0xbf1a4643, v103
	v_sub_f32_e32 v97, v97, v194
	v_add_f32_e32 v191, v191, v228
	v_add_f32_e32 v189, v189, v17
	v_mul_f32_e32 v138, 0x3f6eb680, v90
	v_mul_f32_e32 v171, 0x3f3d2fb0, v90
	;; [unrolled: 1-line block ×26, first 2 shown]
	v_add_f32_e32 v97, v97, v196
	v_sub_f32_e32 v103, v103, v195
	v_add_f32_e32 v189, v191, v189
	v_mul_f32_e32 v191, 0x3ee437d1, v104
	v_add_f32_e32 v190, v190, v242
	v_mul_f32_e32 v201, 0xbe8c1d8e, v115
	v_mul_f32_e32 v253, 0xbf59a7d5, v115
	;; [unrolled: 1-line block ×5, first 2 shown]
	v_add_f32_e32 v168, v168, v197
	v_mul_f32_e32 v197, 0x3dbcf732, v115
	v_mul_f32_e32 v115, 0x3f6eb680, v115
	v_add_f32_e32 v97, v103, v97
	v_sub_f32_e32 v103, v191, v149
	v_add_f32_e32 v189, v190, v189
	v_mul_f32_e32 v190, 0xbe8c1d8e, v107
	v_add_f32_e32 v101, v188, v101
	v_add_f32_e32 v115, v187, v115
	;; [unrolled: 1-line block ×3, first 2 shown]
	v_mul_f32_e32 v194, 0xbf1a4643, v117
	v_sub_f32_e32 v103, v190, v150
	v_add_f32_e32 v101, v101, v189
	v_mul_f32_e32 v196, 0xbe8c1d8e, v117
	v_mul_f32_e32 v242, 0x3f6eb680, v117
	;; [unrolled: 1-line block ×6, first 2 shown]
	v_add_f32_e32 v190, v103, v97
	v_add_f32_e32 v97, v115, v101
	v_sub_f32_e32 v101, v213, v182
	v_sub_f32_e32 v186, v227, v186
	v_add_f32_e32 v103, v192, v117
	v_add_f32_e32 v170, v170, v212
	;; [unrolled: 1-line block ×4, first 2 shown]
	v_mul_f32_e32 v117, 0x3f3d2fb0, v108
	v_add_f32_e32 v103, v103, v97
	v_add_f32_e32 v170, v170, v17
	v_add_f32_e32 v172, v172, v240
	v_add_f32_e32 v97, v186, v101
	v_sub_f32_e32 v101, v241, v185
	v_mul_f32_e32 v214, 0xbf1a4643, v104
	v_add_f32_e32 v170, v173, v170
	v_mul_f32_e32 v228, 0xbe8c1d8e, v104
	v_mul_f32_e32 v195, 0x3f6eb680, v104
	v_add_f32_e32 v97, v101, v97
	v_sub_f32_e32 v101, v252, v179
	v_mul_f32_e32 v255, 0xbf59a7d5, v104
	v_mul_f32_e32 v188, 0x3dbcf732, v104
	;; [unrolled: 1-line block ×4, first 2 shown]
	v_add_f32_e32 v117, v193, v117
	v_add_f32_e32 v97, v101, v97
	v_sub_f32_e32 v101, v198, v183
	v_add_f32_e32 v170, v172, v170
	v_add_f32_e32 v174, v174, v251
	;; [unrolled: 1-line block ×3, first 2 shown]
	v_mul_f32_e32 v197, 0xbe8c1d8e, v120
	v_mul_f32_e32 v187, 0x3dbcf732, v119
	;; [unrolled: 1-line block ×9, first 2 shown]
	v_add_f32_e32 v101, v101, v97
	v_sub_f32_e32 v104, v104, v181
	v_add_f32_e32 v170, v174, v170
	v_add_f32_e32 v103, v117, v103
	;; [unrolled: 1-line block ×3, first 2 shown]
	v_sub_f32_e32 v158, v187, v158
	v_mul_f32_e32 v187, 0xbf59a7d5, v108
	v_mul_f32_e32 v182, 0x3ee437d1, v108
	;; [unrolled: 1-line block ×13, first 2 shown]
	v_add_f32_e32 v97, v168, v159
	v_add_f32_e32 v101, v104, v101
	v_sub_f32_e32 v107, v107, v184
	v_add_f32_e32 v140, v175, v170
	v_add_f32_e32 v159, v176, v189
	;; [unrolled: 1-line block ×3, first 2 shown]
	v_sub_f32_e32 v103, v211, v164
	v_mul_f32_e32 v179, 0xbf7ba420, v120
	v_mul_f32_e32 v240, 0x3f6eb680, v120
	;; [unrolled: 1-line block ×6, first 2 shown]
	v_add_f32_e32 v101, v107, v101
	v_sub_f32_e32 v107, v119, v180
	v_add_f32_e32 v117, v159, v140
	v_add_f32_e32 v108, v178, v108
	;; [unrolled: 1-line block ×3, first 2 shown]
	v_sub_f32_e32 v140, v225, v166
	v_sub_f32_e32 v77, v139, v77
	v_add_f32_e32 v18, v18, v16
	v_add_f32_e32 v103, v107, v101
	;; [unrolled: 1-line block ×6, first 2 shown]
	v_sub_f32_e32 v119, v239, v163
	v_add_f32_e32 v110, v110, v206
	v_add_f32_e32 v77, v77, v16
	v_sub_f32_e32 v78, v217, v78
	v_add_f32_e32 v18, v44, v18
	v_add_f32_e32 v120, v101, v17
	v_add_f32_e32 v140, v155, v224
	v_add_f32_e32 v101, v108, v107
	v_add_f32_e32 v108, v119, v117
	v_sub_f32_e32 v117, v244, v160
	v_add_f32_e32 v110, v110, v17
	v_add_f32_e32 v111, v111, v220
	v_add_f32_e32 v77, v78, v77
	v_sub_f32_e32 v78, v231, v79
	v_add_f32_e32 v18, v46, v18
	v_add_f32_e32 v119, v140, v120
	v_add_f32_e32 v120, v151, v238
	v_add_f32_e32 v108, v117, v108
	v_sub_f32_e32 v117, v199, v161
	v_add_f32_e32 v110, v111, v110
	v_add_f32_e32 v111, v112, v234
	v_add_f32_e32 v77, v78, v77
	v_sub_f32_e32 v78, v216, v81
	v_add_f32_e32 v40, v40, v18
	v_add_f32_e32 v119, v120, v119
	v_add_f32_e32 v120, v152, v250
	v_add_f32_e32 v108, v117, v108
	v_sub_f32_e32 v117, v150, v162
	v_add_f32_e32 v110, v111, v110
	v_add_f32_e32 v111, v113, v247
	v_add_f32_e32 v77, v78, v77
	v_sub_f32_e32 v78, v204, v82
	v_add_f32_e32 v40, v42, v40
	v_add_f32_e32 v119, v120, v119
	v_add_f32_e32 v120, v153, v243
	v_add_f32_e32 v108, v117, v108
	v_sub_f32_e32 v117, v226, v169
	v_add_f32_e32 v110, v111, v110
	v_add_f32_e32 v111, v114, v215
	v_sub_f32_e32 v98, v205, v98
	v_add_f32_e32 v77, v78, v77
	v_sub_f32_e32 v44, v228, v73
	v_add_f32_e32 v19, v37, v19
	v_add_f32_e32 v36, v36, v40
	;; [unrolled: 1-line block ×8, first 2 shown]
	v_sub_f32_e32 v111, v51, v99
	v_add_f32_e32 v44, v44, v77
	v_sub_f32_e32 v46, v115, v74
	v_add_f32_e32 v19, v39, v19
	v_add_f32_e32 v36, v38, v36
	;; [unrolled: 1-line block ×6, first 2 shown]
	v_sub_f32_e32 v107, v209, v142
	v_sub_f32_e32 v123, v207, v123
	v_add_f32_e32 v98, v111, v98
	v_sub_f32_e32 v100, v233, v100
	v_add_f32_e32 v85, v85, v171
	v_add_f32_e32 v41, v46, v44
	;; [unrolled: 1-line block ×15, first 2 shown]
	v_sub_f32_e32 v40, v137, v89
	v_add_f32_e32 v19, v27, v19
	v_add_f32_e32 v24, v26, v24
	;; [unrolled: 1-line block ×3, first 2 shown]
	v_sub_f32_e32 v140, v223, v143
	v_add_f32_e32 v108, v120, v119
	v_add_f32_e32 v119, v134, v133
	;; [unrolled: 1-line block ×3, first 2 shown]
	v_sub_f32_e32 v124, v221, v124
	v_add_f32_e32 v17, v37, v17
	v_add_f32_e32 v37, v56, v93
	v_sub_f32_e32 v25, v91, v55
	v_add_f32_e32 v19, v21, v19
	v_add_f32_e32 v20, v20, v24
	;; [unrolled: 1-line block ×5, first 2 shown]
	v_sub_f32_e32 v140, v237, v144
	v_add_f32_e32 v119, v120, v119
	v_add_f32_e32 v120, v128, v202
	;; [unrolled: 1-line block ×3, first 2 shown]
	v_sub_f32_e32 v121, v235, v121
	v_add_f32_e32 v17, v37, v17
	v_add_f32_e32 v36, v58, v106
	;; [unrolled: 1-line block ×4, first 2 shown]
	v_sub_f32_e32 v92, v246, v92
	v_add_f32_e32 v83, v83, v87
	v_add_f32_e32 v84, v84, v245
	;; [unrolled: 1-line block ×3, first 2 shown]
	v_sub_f32_e32 v140, v249, v145
	v_add_f32_e32 v119, v120, v119
	v_add_f32_e32 v120, v130, v149
	;; [unrolled: 1-line block ×3, first 2 shown]
	v_sub_f32_e32 v122, v230, v122
	v_add_f32_e32 v17, v36, v17
	v_add_f32_e32 v21, v61, v201
	v_sub_f32_e32 v24, v203, v59
	v_add_f32_e32 v19, v29, v19
	v_add_f32_e32 v20, v28, v20
	;; [unrolled: 1-line block ×3, first 2 shown]
	v_sub_f32_e32 v94, v200, v94
	s_waitcnt vmcnt(0)
	v_sub_f32_e32 v43, v43, v52
	v_add_f32_e32 v83, v84, v83
	v_add_f32_e32 v84, v86, v253
	v_add_f32_e32 v107, v140, v107
	v_sub_f32_e32 v140, v254, v148
	v_add_f32_e32 v16, v43, v16
	v_add_f32_e32 v112, v120, v119
	;; [unrolled: 1-line block ×4, first 2 shown]
	v_sub_f32_e32 v121, v229, v125
	v_add_f32_e32 v16, v40, v16
	v_add_f32_e32 v17, v21, v17
	v_add_f32_e32 v21, v63, v194
	v_sub_f32_e32 v22, v214, v60
	v_add_f32_e32 v19, v31, v19
	v_add_f32_e32 v16, v25, v16
	v_sub_f32_e32 v25, v105, v57
	v_add_f32_e32 v20, v30, v20
	v_add_f32_e32 v109, v109, v242
	;; [unrolled: 1-line block ×3, first 2 shown]
	v_sub_f32_e32 v94, v195, v95
	v_add_f32_e32 v16, v25, v16
	v_add_f32_e32 v83, v84, v83
	;; [unrolled: 1-line block ×4, first 2 shown]
	v_sub_f32_e32 v132, v188, v146
	v_add_f32_e32 v16, v24, v16
	v_add_f32_e32 v112, v119, v112
	v_add_f32_e32 v113, v121, v120
	v_sub_f32_e32 v119, v255, v126
	v_add_f32_e32 v17, v21, v17
	v_add_f32_e32 v21, v64, v187
	v_add_f32_e32 v16, v22, v16
	;; [unrolled: 4-line block ×3, first 2 shown]
	v_add_f32_e32 v110, v116, v213
	v_add_f32_e32 v79, v94, v92
	v_sub_f32_e32 v87, v192, v96
	v_add_f32_e32 v82, v84, v83
	v_add_f32_e32 v76, v76, v182
	;; [unrolled: 1-line block ×3, first 2 shown]
	v_sub_f32_e32 v132, v185, v147
	v_add_f32_e32 v114, v136, v198
	v_add_f32_e32 v113, v119, v113
	v_sub_f32_e32 v119, v193, v127
	v_add_f32_e32 v17, v21, v17
	v_add_f32_e32 v21, v72, v179
	;; [unrolled: 1-line block ×3, first 2 shown]
	v_sub_f32_e32 v22, v227, v71
	v_add_f32_e32 v23, v35, v19
	v_add_f32_e32 v24, v34, v20
	v_and_b32_e32 v25, 0xffff, v70
	v_add_f32_e32 v109, v110, v109
	v_add_f32_e32 v110, v118, v183
	;; [unrolled: 1-line block ×3, first 2 shown]
	v_sub_f32_e32 v81, v241, v102
	v_add_f32_e32 v45, v76, v82
	v_add_f32_e32 v73, v80, v240
	v_sub_f32_e32 v42, v173, v75
	v_add_f32_e32 v107, v132, v107
	v_sub_f32_e32 v131, v251, v141
	v_add_f32_e32 v99, v114, v112
	v_add_f32_e32 v112, v119, v113
	v_sub_f32_e32 v111, v172, v129
	v_sub_f32_e32 v140, v174, v167
	v_add_f32_e32 v20, v21, v17
	v_add_f32_e32 v19, v22, v16
	;; [unrolled: 1-line block ×4, first 2 shown]
	v_add_lshl_u32 v16, v67, v25, 3
	v_add_f32_e32 v85, v110, v109
	v_add_f32_e32 v84, v81, v79
	;; [unrolled: 1-line block ×8, first 2 shown]
	ds_write2_b64 v16, v[12:13], v[19:20] offset1:1
	ds_write2_b64 v16, v[17:18], v[84:85] offset0:2 offset1:3
	ds_write2_b64 v16, v[98:99], v[107:108] offset0:4 offset1:5
	;; [unrolled: 1-line block ×7, first 2 shown]
	ds_write_b64 v16, v[49:50] offset:128
.LBB0_7:
	s_or_b32 exec_lo, exec_lo, s2
	v_lshlrev_b32_e32 v12, 6, v68
	s_load_dwordx4 s[0:3], s[0:1], 0x0
	s_waitcnt lgkmcnt(0)
	s_waitcnt_vscnt null, 0x0
	s_barrier
	buffer_gl0_inv
	s_clause 0x3
	global_load_dwordx4 v[28:31], v12, s[4:5]
	global_load_dwordx4 v[24:27], v12, s[4:5] offset:16
	global_load_dwordx4 v[20:23], v12, s[4:5] offset:32
	;; [unrolled: 1-line block ×3, first 2 shown]
	v_add_lshl_u32 v72, v67, v68, 3
	ds_read2_b64 v[32:35], v72 offset1:17
	ds_read2_b64 v[36:39], v72 offset0:34 offset1:51
	ds_read2_b64 v[40:43], v72 offset0:68 offset1:85
	;; [unrolled: 1-line block ×3, first 2 shown]
	ds_read_b64 v[12:13], v72 offset:1088
	v_lshl_add_u32 v71, v68, 3, v69
	s_waitcnt vmcnt(3) lgkmcnt(4)
	v_mul_f32_e32 v51, v35, v29
	v_mul_f32_e32 v52, v34, v29
	s_waitcnt lgkmcnt(3)
	v_mul_f32_e32 v53, v37, v31
	v_mul_f32_e32 v54, v36, v31
	s_waitcnt vmcnt(2) lgkmcnt(2)
	v_mul_f32_e32 v57, v41, v27
	v_mul_f32_e32 v58, v40, v27
	s_waitcnt vmcnt(1)
	v_mul_f32_e32 v59, v43, v21
	v_mul_f32_e32 v60, v42, v21
	s_waitcnt vmcnt(0) lgkmcnt(1)
	v_mul_f32_e32 v63, v47, v17
	v_mul_f32_e32 v64, v46, v17
	s_waitcnt lgkmcnt(0)
	v_mul_f32_e32 v65, v13, v19
	v_mul_f32_e32 v73, v12, v19
	;; [unrolled: 1-line block ×6, first 2 shown]
	v_fma_f32 v34, v34, v28, -v51
	v_fmac_f32_e32 v52, v35, v28
	v_fma_f32 v35, v36, v30, -v53
	v_fmac_f32_e32 v54, v37, v30
	;; [unrolled: 2-line block ×8, first 2 shown]
	v_add_f32_e32 v41, v34, v12
	v_add_f32_e32 v42, v52, v73
	;; [unrolled: 1-line block ×4, first 2 shown]
	v_sub_f32_e32 v12, v34, v12
	v_sub_f32_e32 v34, v52, v73
	;; [unrolled: 1-line block ×6, first 2 shown]
	v_add_f32_e32 v53, v37, v40
	v_add_f32_e32 v54, v58, v60
	;; [unrolled: 1-line block ×3, first 2 shown]
	v_sub_f32_e32 v47, v56, v62
	v_mul_f32_e32 v55, 0x3f248dbb, v12
	v_mul_f32_e32 v56, 0x3f248dbb, v34
	v_fmamk_f32 v57, v41, 0x3f441b7d, v32
	v_fmamk_f32 v59, v42, 0x3f441b7d, v33
	v_mul_f32_e32 v61, 0xbf248dbb, v51
	v_mul_f32_e32 v62, 0xbf248dbb, v52
	v_fmamk_f32 v63, v53, 0x3f441b7d, v32
	v_fmamk_f32 v64, v54, 0x3f441b7d, v33
	;; [unrolled: 4-line block ×3, first 2 shown]
	v_add_f32_e32 v45, v36, v38
	v_sub_f32_e32 v36, v36, v38
	v_add_f32_e32 v74, v43, v41
	v_add_f32_e32 v75, v44, v42
	v_fmac_f32_e32 v55, 0x3f7c1c5c, v13
	v_fmac_f32_e32 v56, 0x3f7c1c5c, v35
	;; [unrolled: 1-line block ×8, first 2 shown]
	v_fma_f32 v76, 0xbf248dbb, v13, -v76
	v_fma_f32 v77, 0xbf248dbb, v35, -v77
	v_fmac_f32_e32 v78, 0x3e31d0d4, v53
	v_fmac_f32_e32 v79, 0x3e31d0d4, v54
	v_add_f32_e32 v65, v51, v12
	v_add_f32_e32 v73, v52, v34
	;; [unrolled: 1-line block ×8, first 2 shown]
	v_fmac_f32_e32 v55, 0x3f5db3d7, v36
	v_fmac_f32_e32 v56, 0x3f5db3d7, v47
	v_fmac_f32_e32 v57, -0.5, v45
	v_fmac_f32_e32 v59, -0.5, v46
	v_fmac_f32_e32 v61, 0xbf5db3d7, v36
	v_fmac_f32_e32 v62, 0xbf5db3d7, v47
	v_fmac_f32_e32 v63, -0.5, v45
	v_fmac_f32_e32 v64, -0.5, v46
	;; [unrolled: 4-line block ×3, first 2 shown]
	v_sub_f32_e32 v65, v65, v13
	v_sub_f32_e32 v73, v73, v35
	v_fmac_f32_e32 v38, -0.5, v80
	v_fmac_f32_e32 v39, -0.5, v81
	v_add_f32_e32 v36, v37, v74
	v_add_f32_e32 v37, v58, v75
	v_fmac_f32_e32 v55, 0x3eaf1d44, v51
	v_fmac_f32_e32 v56, 0x3eaf1d44, v52
	;; [unrolled: 1-line block ×12, first 2 shown]
	v_mul_f32_e32 v82, 0x3f5db3d7, v65
	v_mul_f32_e32 v83, 0x3f5db3d7, v73
	v_fmac_f32_e32 v38, 0x3f5db3d7, v73
	v_fmac_f32_e32 v39, 0xbf5db3d7, v65
	v_add_f32_e32 v12, v40, v36
	v_add_f32_e32 v13, v60, v37
	;; [unrolled: 1-line block ×3, first 2 shown]
	v_sub_f32_e32 v35, v59, v55
	v_add_f32_e32 v36, v62, v63
	v_sub_f32_e32 v37, v64, v61
	v_add_f32_e32 v44, v77, v78
	v_sub_f32_e32 v45, v79, v76
	v_fma_f32 v40, -2.0, v83, v38
	v_fma_f32 v41, 2.0, v82, v39
	v_add_f32_e32 v32, v12, v32
	v_add_f32_e32 v33, v13, v33
	v_fma_f32 v12, -2.0, v56, v34
	v_fma_f32 v42, -2.0, v62, v36
	;; [unrolled: 1-line block ×3, first 2 shown]
	v_fma_f32 v47, 2.0, v76, v45
	v_fma_f32 v43, 2.0, v61, v37
	;; [unrolled: 1-line block ×3, first 2 shown]
	ds_write2_b64 v71, v[32:33], v[34:35] offset1:17
	ds_write2_b64 v71, v[36:37], v[38:39] offset0:34 offset1:51
	ds_write2_b64 v71, v[44:45], v[46:47] offset0:68 offset1:85
	;; [unrolled: 1-line block ×3, first 2 shown]
	ds_write_b64 v71, v[12:13] offset:1088
	s_waitcnt lgkmcnt(0)
	s_barrier
	buffer_gl0_inv
	s_and_saveexec_b32 s8, vcc_lo
	s_cbranch_execz .LBB0_9
; %bb.8:
	s_add_u32 s4, s6, 0x4c8
	s_addc_u32 s5, s7, 0
	s_clause 0x10
	global_load_dwordx2 v[63:64], v66, s[6:7] offset:1224
	global_load_dwordx2 v[93:94], v66, s[4:5] offset:72
	;; [unrolled: 1-line block ×17, first 2 shown]
	ds_read2_b64 v[51:54], v71 offset1:9
	ds_read2_b64 v[55:58], v71 offset0:18 offset1:27
	ds_read2_b64 v[59:62], v71 offset0:36 offset1:45
	;; [unrolled: 1-line block ×7, first 2 shown]
	ds_read_b64 v[125:126], v71 offset:1152
	s_waitcnt vmcnt(16) lgkmcnt(8)
	v_mul_f32_e32 v65, v52, v64
	v_mul_f32_e32 v128, v51, v64
	s_waitcnt vmcnt(15)
	v_mul_f32_e32 v129, v54, v94
	v_mul_f32_e32 v64, v53, v94
	s_waitcnt vmcnt(14) lgkmcnt(7)
	v_mul_f32_e32 v130, v56, v96
	v_mul_f32_e32 v94, v55, v96
	s_waitcnt vmcnt(13)
	v_mul_f32_e32 v131, v58, v98
	v_mul_f32_e32 v96, v57, v98
	;; [unrolled: 6-line block ×8, first 2 shown]
	s_waitcnt vmcnt(0) lgkmcnt(0)
	v_mul_f32_e32 v144, v126, v124
	v_mul_f32_e32 v122, v125, v124
	v_fma_f32 v127, v51, v63, -v65
	v_fmac_f32_e32 v128, v52, v63
	v_fma_f32 v63, v53, v93, -v129
	v_fmac_f32_e32 v64, v54, v93
	;; [unrolled: 2-line block ×17, first 2 shown]
	ds_write2_b64 v71, v[127:128], v[63:64] offset1:9
	ds_write2_b64 v71, v[93:94], v[95:96] offset0:18 offset1:27
	ds_write2_b64 v71, v[97:98], v[99:100] offset0:36 offset1:45
	;; [unrolled: 1-line block ×7, first 2 shown]
	ds_write_b64 v71, v[121:122] offset:1152
.LBB0_9:
	s_or_b32 exec_lo, exec_lo, s8
	s_waitcnt lgkmcnt(0)
	s_barrier
	buffer_gl0_inv
	s_and_saveexec_b32 s4, vcc_lo
	s_cbranch_execz .LBB0_11
; %bb.10:
	ds_read2_b64 v[32:35], v71 offset1:9
	ds_read2_b64 v[36:39], v71 offset0:18 offset1:27
	ds_read2_b64 v[44:47], v71 offset0:36 offset1:45
	ds_read2_b64 v[40:43], v71 offset0:54 offset1:63
	ds_read2_b64 v[12:15], v71 offset0:72 offset1:81
	ds_read2_b64 v[8:11], v71 offset0:90 offset1:99
	ds_read2_b64 v[4:7], v71 offset0:108 offset1:117
	ds_read2_b64 v[0:3], v71 offset0:126 offset1:135
	ds_read_b64 v[49:50], v71 offset:1152
.LBB0_11:
	s_or_b32 exec_lo, exec_lo, s4
	s_waitcnt lgkmcnt(0)
	s_barrier
	buffer_gl0_inv
	s_and_saveexec_b32 s4, vcc_lo
	s_cbranch_execz .LBB0_13
; %bb.12:
	v_add_f32_e32 v64, v50, v35
	v_sub_f32_e32 v78, v34, v49
	v_add_f32_e32 v192, v3, v37
	v_sub_f32_e32 v74, v36, v2
	v_add_f32_e32 v190, v1, v39
	v_mul_f32_e32 v92, 0xbf7ba420, v64
	v_sub_f32_e32 v75, v38, v0
	v_mul_f32_e32 v94, 0x3f6eb680, v192
	v_add_f32_e32 v185, v7, v45
	v_mul_f32_e32 v95, 0xbf59a7d5, v190
	v_fmamk_f32 v51, v78, 0x3e3c28d5, v92
	v_sub_f32_e32 v73, v44, v6
	v_fmamk_f32 v52, v74, 0xbeb8f4ab, v94
	v_add_f32_e32 v186, v5, v47
	v_mul_f32_e32 v96, 0x3f3d2fb0, v185
	v_add_f32_e32 v51, v33, v51
	v_fmamk_f32 v53, v75, 0x3f06c442, v95
	v_sub_f32_e32 v152, v35, v50
	v_sub_f32_e32 v76, v46, v4
	v_add_f32_e32 v63, v11, v41
	v_add_f32_e32 v51, v52, v51
	;; [unrolled: 1-line block ×3, first 2 shown]
	v_mul_f32_e32 v101, 0xbf1a4643, v186
	v_fmamk_f32 v52, v73, 0xbf2c7751, v96
	v_sub_f32_e32 v153, v37, v3
	v_add_f32_e32 v51, v53, v51
	v_mul_f32_e32 v100, 0xbe3c28d5, v152
	v_sub_f32_e32 v77, v40, v10
	v_mul_f32_e32 v98, 0x3ee437d1, v63
	v_fmamk_f32 v53, v76, 0x3f4c4adb, v101
	v_add_f32_e32 v51, v52, v51
	v_add_f32_e32 v81, v2, v36
	v_mul_f32_e32 v99, 0x3eb8f4ab, v153
	v_fmamk_f32 v54, v80, 0xbf7ba420, v100
	v_sub_f32_e32 v165, v39, v1
	v_fmamk_f32 v52, v77, 0xbf65296c, v98
	v_add_f32_e32 v51, v53, v51
	v_fmamk_f32 v53, v81, 0x3f6eb680, v99
	v_add_f32_e32 v54, v32, v54
	v_add_f32_e32 v83, v0, v38
	v_mul_f32_e32 v93, 0xbf06c442, v165
	v_sub_f32_e32 v172, v45, v7
	v_add_f32_e32 v175, v9, v43
	v_add_f32_e32 v51, v52, v51
	;; [unrolled: 1-line block ×3, first 2 shown]
	v_fmamk_f32 v53, v83, 0xbf59a7d5, v93
	v_add_f32_e32 v84, v6, v44
	v_mul_f32_e32 v89, 0x3f2c7751, v172
	v_sub_f32_e32 v173, v47, v5
	v_mul_f32_e32 v97, 0xbe8c1d8e, v175
	v_sub_f32_e32 v79, v42, v8
	v_add_f32_e32 v178, v15, v13
	v_add_f32_e32 v52, v53, v52
	v_fmamk_f32 v53, v84, 0x3f3d2fb0, v89
	v_add_f32_e32 v85, v4, v46
	v_mul_f32_e32 v90, 0xbf4c4adb, v173
	v_sub_f32_e32 v169, v41, v11
	v_fmamk_f32 v54, v79, 0x3f763a35, v97
	v_mul_f32_e32 v104, 0x3dbcf732, v178
	v_sub_f32_e32 v82, v12, v14
	v_add_f32_e32 v52, v53, v52
	v_fmamk_f32 v53, v85, 0xbf1a4643, v90
	v_add_f32_e32 v86, v10, v40
	v_mul_f32_e32 v91, 0x3f65296c, v169
	v_mul_f32_e32 v119, 0xbf59a7d5, v64
	v_add_f32_e32 v51, v54, v51
	v_fmamk_f32 v54, v82, 0xbf7ee86f, v104
	v_add_f32_e32 v53, v53, v52
	v_fmamk_f32 v55, v86, 0x3ee437d1, v91
	v_fmamk_f32 v56, v78, 0x3f06c442, v119
	v_mul_f32_e32 v105, 0x3ee437d1, v192
	v_add_f32_e32 v52, v54, v51
	v_sub_f32_e32 v176, v43, v9
	v_add_f32_e32 v51, v55, v53
	v_add_f32_e32 v53, v33, v56
	v_fmamk_f32 v54, v74, 0xbf65296c, v105
	v_mul_f32_e32 v106, 0x3dbcf732, v190
	v_add_f32_e32 v88, v8, v42
	v_mul_f32_e32 v102, 0xbf763a35, v176
	v_sub_f32_e32 v177, v13, v15
	v_add_f32_e32 v53, v54, v53
	v_fmamk_f32 v54, v75, 0x3f7ee86f, v106
	v_mul_f32_e32 v110, 0xbf1a4643, v185
	v_fmamk_f32 v55, v88, 0xbe8c1d8e, v102
	v_add_f32_e32 v87, v14, v12
	v_mul_f32_e32 v103, 0x3f7ee86f, v177
	v_add_f32_e32 v53, v54, v53
	v_fmamk_f32 v54, v73, 0xbf4c4adb, v110
	v_mul_f32_e32 v111, 0x3f6eb680, v186
	v_add_f32_e32 v51, v55, v51
	v_fmamk_f32 v55, v87, 0x3dbcf732, v103
	;; [unrolled: 3-line block ×85, first 2 shown]
	v_mul_f32_e32 v201, 0x3ee437d1, v175
	v_add_f32_e32 v35, v35, v33
	v_add_f32_e32 v65, v32, v65
	v_fmamk_f32 v194, v81, 0x3dbcf732, v215
	v_mul_f32_e32 v180, 0xbf4c4adb, v165
	v_add_f32_e32 v203, v181, v130
	v_fmamk_f32 v205, v79, 0xbf65296c, v201
	v_mul_f32_e32 v130, 0x3f6eb680, v178
	v_add_f32_e32 v37, v37, v35
	v_add_f32_e32 v34, v34, v32
	v_add_f32_e32 v65, v194, v65
	v_fmamk_f32 v194, v83, 0xbf1a4643, v180
	v_mul_f32_e32 v181, 0xbe3c28d5, v172
	v_add_f32_e32 v205, v205, v203
	v_fmamk_f32 v206, v82, 0xbeb8f4ab, v130
	v_mul_f32_e32 v203, 0x3f6eb680, v64
	v_add_f32_e32 v37, v39, v37
	;; [unrolled: 8-line block ×6, first 2 shown]
	v_add_f32_e32 v40, v40, v41
	v_add_f32_e32 v65, v218, v65
	v_fmamk_f32 v218, v87, 0x3f6eb680, v185
	v_add_f32_e32 v216, v217, v216
	v_fmamk_f32 v217, v76, 0x3f763a35, v186
	v_mul_f32_e32 v35, 0xbf1a4643, v63
	v_add_f32_e32 v13, v13, v37
	v_add_f32_e32 v37, v42, v40
	;; [unrolled: 1-line block ×4, first 2 shown]
	v_fmamk_f32 v39, v77, 0x3f4c4adb, v35
	v_mul_f32_e32 v34, 0xbf59a7d5, v175
	v_mul_f32_e32 v152, 0xbeb8f4ab, v152
	v_add_f32_e32 v13, v15, v13
	v_add_f32_e32 v15, v12, v37
	;; [unrolled: 1-line block ×3, first 2 shown]
	v_fmamk_f32 v39, v79, 0x3f06c442, v34
	v_fmamk_f32 v45, v80, 0x3f6eb680, v152
	v_mul_f32_e32 v44, 0xbf2c7751, v153
	v_add_f32_e32 v9, v9, v13
	v_add_f32_e32 v13, v14, v15
	v_fmac_f32_e32 v92, 0xbe3c28d5, v78
	v_add_f32_e32 v38, v39, v38
	v_add_f32_e32 v39, v32, v45
	v_fmamk_f32 v45, v81, 0x3f3d2fb0, v44
	v_mul_f32_e32 v46, 0xbf65296c, v165
	v_mul_f32_e32 v36, 0xbf7ba420, v178
	v_add_f32_e32 v9, v11, v9
	v_add_f32_e32 v8, v8, v13
	;; [unrolled: 1-line block ×3, first 2 shown]
	v_fmac_f32_e32 v94, 0x3eb8f4ab, v74
	v_add_f32_e32 v39, v45, v39
	v_fmamk_f32 v41, v83, 0x3ee437d1, v46
	v_mul_f32_e32 v43, 0xbf7ee86f, v172
	v_fmamk_f32 v40, v82, 0x3e3c28d5, v36
	v_add_f32_e32 v5, v5, v9
	v_add_f32_e32 v8, v10, v8
	;; [unrolled: 1-line block ×3, first 2 shown]
	v_fmac_f32_e32 v95, 0xbf06c442, v75
	v_add_f32_e32 v39, v41, v39
	v_fmamk_f32 v41, v84, 0x3dbcf732, v43
	v_add_f32_e32 v12, v40, v38
	v_mul_f32_e32 v40, 0xbf763a35, v173
	v_add_f32_e32 v5, v7, v5
	v_add_f32_e32 v4, v4, v8
	v_add_f32_e32 v7, v95, v9
	v_fmac_f32_e32 v96, 0x3f2c7751, v73
	v_add_f32_e32 v37, v41, v39
	v_fmamk_f32 v14, v85, 0xbe8c1d8e, v40
	v_mul_f32_e32 v15, 0xbf4c4adb, v169
	v_add_f32_e32 v1, v1, v5
	v_add_f32_e32 v4, v6, v4
	v_add_f32_e32 v5, v96, v7
	v_fmac_f32_e32 v101, 0xbf4c4adb, v76
	v_add_f32_e32 v13, v14, v37
	v_fmamk_f32 v14, v86, 0xbf1a4643, v15
	;; [unrolled: 7-line block ×3, first 2 shown]
	v_mul_f32_e32 v41, 0xbe3c28d5, v177
	v_fma_f32 v4, 0xbf7ba420, v80, -v100
	v_add_f32_e32 v0, v2, v0
	v_add_f32_e32 v2, v98, v3
	v_fmac_f32_e32 v97, 0xbf763a35, v79
	v_add_f32_e32 v6, v8, v10
	v_fmamk_f32 v7, v87, 0xbf7ba420, v41
	v_add_f32_e32 v3, v32, v4
	v_fma_f32 v4, 0x3f6eb680, v81, -v99
	v_fmac_f32_e32 v119, 0xbf06c442, v78
	v_add_f32_e32 v2, v97, v2
	v_fmac_f32_e32 v104, 0x3f7ee86f, v82
	v_add_f32_e32 v11, v7, v6
	v_add_f32_e32 v4, v4, v3
	v_fma_f32 v5, 0xbf59a7d5, v83, -v93
	v_add_f32_e32 v6, v33, v119
	v_fmac_f32_e32 v105, 0x3f65296c, v74
	v_add_f32_e32 v3, v104, v2
	v_fma_f32 v2, 0xbf59a7d5, v80, -v123
	v_add_f32_e32 v4, v5, v4
	v_fma_f32 v5, 0x3f3d2fb0, v84, -v89
	v_add_f32_e32 v6, v105, v6
	v_fmac_f32_e32 v106, 0xbf7ee86f, v75
	v_add_f32_e32 v2, v32, v2
	v_fma_f32 v7, 0x3ee437d1, v81, -v124
	;; [unrolled: 6-line block ×6, first 2 shown]
	v_fmac_f32_e32 v121, 0xbf4c4adb, v78
	v_add_f32_e32 v2, v5, v4
	v_add_f32_e32 v4, v112, v6
	v_fmac_f32_e32 v113, 0xbf763a35, v82
	v_add_f32_e32 v6, v8, v7
	v_fma_f32 v7, 0x3f3d2fb0, v88, -v133
	v_add_f32_e32 v8, v33, v121
	v_fmac_f32_e32 v118, 0x3f763a35, v74
	v_add_f32_e32 v5, v113, v4
	v_fma_f32 v4, 0xbf1a4643, v80, -v135
	v_add_f32_e32 v6, v7, v6
	v_fma_f32 v7, 0xbe8c1d8e, v87, -v120
	v_add_f32_e32 v8, v118, v8
	v_fmac_f32_e32 v107, 0xbeb8f4ab, v75
	v_add_f32_e32 v9, v32, v4
	v_fma_f32 v10, 0xbe8c1d8e, v81, -v137
	v_add_f32_e32 v4, v7, v6
	v_fmac_f32_e32 v155, 0xbf763a35, v78
	v_add_f32_e32 v6, v107, v8
	v_fmac_f32_e32 v108, 0xbf06c442, v73
	v_add_f32_e32 v7, v10, v9
	v_fma_f32 v8, 0x3f6eb680, v83, -v126
	v_add_f32_e32 v9, v33, v155
	v_fmac_f32_e32 v156, 0x3f06c442, v74
	v_add_f32_e32 v6, v108, v6
	v_fmac_f32_e32 v109, 0x3f7ee86f, v76
	v_add_f32_e32 v7, v8, v7
	v_fma_f32 v8, 0xbf59a7d5, v84, -v127
	v_add_f32_e32 v9, v156, v9
	v_fmac_f32_e32 v157, 0x3f2c7751, v75
	v_add_f32_e32 v6, v109, v6
	v_fmac_f32_e32 v114, 0xbf2c7751, v77
	v_add_f32_e32 v7, v8, v7
	v_fma_f32 v8, 0x3dbcf732, v85, -v138
	v_add_f32_e32 v9, v157, v9
	v_fmac_f32_e32 v158, 0xbf65296c, v73
	v_add_f32_e32 v6, v114, v6
	v_fmac_f32_e32 v115, 0xbe3c28d5, v79
	v_add_f32_e32 v7, v8, v7
	v_fma_f32 v8, 0x3f3d2fb0, v86, -v139
	v_add_f32_e32 v9, v158, v9
	v_fmac_f32_e32 v159, 0xbe3c28d5, v76
	v_add_f32_e32 v6, v115, v6
	v_fmac_f32_e32 v116, 0x3f65296c, v82
	v_add_f32_e32 v8, v8, v7
	v_fma_f32 v10, 0xbf7ba420, v88, -v140
	v_add_f32_e32 v9, v159, v9
	v_fmac_f32_e32 v161, 0x3f7ee86f, v77
	v_add_f32_e32 v7, v116, v6
	v_fma_f32 v6, 0xbe8c1d8e, v80, -v160
	v_add_f32_e32 v8, v10, v8
	v_fma_f32 v10, 0x3ee437d1, v87, -v129
	v_add_f32_e32 v9, v161, v9
	v_fmac_f32_e32 v141, 0xbeb8f4ab, v79
	v_add_f32_e32 v13, v32, v6
	v_fma_f32 v14, 0xbf59a7d5, v81, -v162
	v_fmac_f32_e32 v174, 0xbf7ee86f, v78
	v_add_f32_e32 v6, v10, v8
	v_add_f32_e32 v8, v141, v9
	v_fmac_f32_e32 v142, 0xbf4c4adb, v82
	v_add_f32_e32 v10, v14, v13
	v_fma_f32 v13, 0x3f3d2fb0, v83, -v143
	v_add_f32_e32 v14, v33, v174
	v_fmac_f32_e32 v146, 0xbe3c28d5, v74
	v_add_f32_e32 v9, v142, v8
	v_fma_f32 v8, 0x3dbcf732, v80, -v183
	v_add_f32_e32 v10, v13, v10
	v_fma_f32 v13, 0x3ee437d1, v84, -v122
	v_add_f32_e32 v14, v146, v14
	v_fmac_f32_e32 v147, 0x3f763a35, v75
	v_add_f32_e32 v8, v32, v8
	v_fma_f32 v37, 0xbf7ba420, v81, -v184
	;; [unrolled: 6-line block ×6, first 2 shown]
	v_add_f32_e32 v8, v13, v10
	v_fmac_f32_e32 v182, 0xbf65296c, v78
	v_add_f32_e32 v10, v163, v14
	v_fmac_f32_e32 v164, 0x3f2c7751, v82
	v_add_f32_e32 v13, v38, v37
	v_fma_f32 v37, 0xbf1a4643, v88, -v195
	v_add_f32_e32 v38, v33, v182
	v_fmac_f32_e32 v171, 0xbf4c4adb, v74
	v_add_f32_e32 v14, v164, v10
	v_fma_f32 v10, 0x3ee437d1, v80, -v196
	v_add_f32_e32 v13, v37, v13
	v_fma_f32 v37, 0x3f3d2fb0, v87, -v179
	v_add_f32_e32 v38, v171, v38
	v_fmac_f32_e32 v148, 0x3e3c28d5, v75
	v_add_f32_e32 v10, v32, v10
	v_fma_f32 v42, 0xbf1a4643, v81, -v197
	v_fmac_f32_e32 v208, 0xbf2c7751, v78
	v_add_f32_e32 v13, v37, v13
	v_add_f32_e32 v37, v148, v38
	v_fmac_f32_e32 v149, 0x3f763a35, v73
	v_add_f32_e32 v10, v42, v10
	v_fma_f32 v38, 0xbf7ba420, v83, -v188
	v_add_f32_e32 v42, v33, v208
	v_fmac_f32_e32 v209, 0xbf7ee86f, v74
	v_add_f32_e32 v37, v149, v37
	v_fmac_f32_e32 v150, 0x3f2c7751, v76
	v_add_f32_e32 v10, v38, v10
	v_fma_f32 v38, 0xbe8c1d8e, v84, -v189
	v_add_f32_e32 v42, v209, v42
	v_fmac_f32_e32 v210, 0xbf4c4adb, v75
	;; [unrolled: 6-line block ×5, first 2 shown]
	v_add_f32_e32 v38, v168, v37
	v_fma_f32 v37, 0x3f3d2fb0, v80, -v213
	v_add_f32_e32 v10, v45, v10
	v_fma_f32 v45, 0xbf59a7d5, v87, -v193
	v_add_f32_e32 v42, v214, v42
	v_fmac_f32_e32 v201, 0x3f65296c, v79
	v_add_f32_e32 v47, v32, v37
	v_fmac_f32_e32 v203, 0xbeb8f4ab, v78
	v_add_f32_e32 v37, v45, v10
	v_add_f32_e32 v0, v49, v0
	;; [unrolled: 1-line block ×3, first 2 shown]
	v_fma_f32 v42, 0x3f6eb680, v80, -v152
	v_fma_f32 v49, 0x3dbcf732, v81, -v215
	v_add_f32_e32 v33, v33, v203
	v_fmac_f32_e32 v205, 0xbf2c7751, v74
	v_fmac_f32_e32 v206, 0xbf65296c, v75
	v_add_f32_e32 v32, v32, v42
	v_fma_f32 v42, 0x3f3d2fb0, v81, -v44
	v_add_f32_e32 v45, v49, v47
	v_fma_f32 v47, 0xbf1a4643, v83, -v180
	v_add_f32_e32 v33, v205, v33
	v_fmac_f32_e32 v207, 0xbf7ee86f, v73
	v_add_f32_e32 v32, v42, v32
	v_fma_f32 v42, 0x3ee437d1, v83, -v46
	v_add_f32_e32 v44, v47, v45
	v_fma_f32 v45, 0xbf7ba420, v84, -v181
	v_add_f32_e32 v33, v206, v33
	;; [unrolled: 6-line block ×3, first 2 shown]
	v_fma_f32 v40, 0xbe8c1d8e, v85, -v40
	v_add_f32_e32 v32, v42, v32
	v_fmac_f32_e32 v35, 0xbf4c4adb, v77
	v_add_f32_e32 v43, v45, v44
	v_fma_f32 v44, 0xbe8c1d8e, v86, -v192
	v_add_f32_e32 v33, v186, v33
	v_add_f32_e32 v32, v40, v32
	v_fma_f32 v15, 0xbf1a4643, v86, -v15
	v_fmac_f32_e32 v34, 0xbf06c442, v79
	v_add_f32_e32 v42, v44, v43
	v_fma_f32 v43, 0x3ee437d1, v88, -v190
	v_add_f32_e32 v33, v35, v33
	v_add_f32_e32 v15, v15, v32
	v_fma_f32 v32, 0xbf59a7d5, v88, -v39
	v_and_b32_e32 v39, 0xffff, v70
	v_add_f32_e32 v1, v50, v1
	v_fmac_f32_e32 v130, 0x3eb8f4ab, v82
	v_add_f32_e32 v40, v43, v42
	v_fma_f32 v35, 0x3f6eb680, v87, -v185
	v_add_f32_e32 v34, v34, v33
	v_fmac_f32_e32 v36, 0xbe3c28d5, v82
	v_add_f32_e32 v15, v32, v15
	v_fma_f32 v41, 0xbf7ba420, v87, -v41
	v_lshl_add_u32 v39, v39, 3, v69
	v_add_f32_e32 v33, v130, v10
	v_add_f32_e32 v32, v35, v40
	;; [unrolled: 1-line block ×4, first 2 shown]
	ds_write2_b64 v39, v[0:1], v[11:12] offset1:1
	ds_write2_b64 v39, v[63:64], v[61:62] offset0:2 offset1:3
	ds_write2_b64 v39, v[59:60], v[57:58] offset0:4 offset1:5
	;; [unrolled: 1-line block ×7, first 2 shown]
	ds_write_b64 v39, v[34:35] offset:128
.LBB0_13:
	s_or_b32 exec_lo, exec_lo, s4
	s_waitcnt lgkmcnt(0)
	s_barrier
	buffer_gl0_inv
	ds_read2_b64 v[0:3], v72 offset1:17
	ds_read2_b64 v[4:7], v72 offset0:34 offset1:51
	ds_read2_b64 v[8:11], v72 offset0:68 offset1:85
	;; [unrolled: 1-line block ×3, first 2 shown]
	ds_read_b64 v[32:33], v72 offset:1088
	s_waitcnt lgkmcnt(4)
	v_mul_f32_e32 v34, v29, v3
	v_mul_f32_e32 v29, v29, v2
	s_waitcnt lgkmcnt(3)
	v_mul_f32_e32 v35, v31, v5
	v_mul_f32_e32 v31, v31, v4
	;; [unrolled: 1-line block ×4, first 2 shown]
	s_waitcnt lgkmcnt(2)
	v_mul_f32_e32 v37, v27, v9
	v_mul_f32_e32 v27, v27, v8
	v_fmac_f32_e32 v34, v28, v2
	v_fma_f32 v2, v28, v3, -v29
	v_fma_f32 v3, v30, v5, -v31
	s_waitcnt lgkmcnt(0)
	v_mul_f32_e32 v5, v19, v33
	v_mul_f32_e32 v38, v21, v11
	;; [unrolled: 1-line block ×3, first 2 shown]
	v_fmac_f32_e32 v35, v30, v4
	v_fma_f32 v4, v24, v7, -v25
	v_fma_f32 v7, v26, v9, -v27
	v_mul_f32_e32 v9, v17, v15
	v_fmac_f32_e32 v5, v18, v32
	v_mul_f32_e32 v21, v21, v10
	v_fmac_f32_e32 v36, v24, v6
	;; [unrolled: 2-line block ×3, first 2 shown]
	v_fmac_f32_e32 v38, v20, v10
	v_fmac_f32_e32 v39, v22, v12
	v_mul_f32_e32 v8, v23, v12
	v_mul_f32_e32 v10, v17, v14
	v_fmac_f32_e32 v9, v16, v14
	v_sub_f32_e32 v12, v34, v5
	v_fma_f32 v20, v20, v11, -v21
	v_fma_f32 v6, v18, v33, -v6
	;; [unrolled: 1-line block ×3, first 2 shown]
	v_sub_f32_e32 v15, v35, v9
	v_mul_f32_e32 v18, 0x3f248dbb, v12
	v_sub_f32_e32 v25, v37, v38
	v_fma_f32 v8, v22, v13, -v8
	v_sub_f32_e32 v13, v2, v6
	v_add_f32_e32 v28, v37, v38
	v_add_f32_e32 v29, v7, v20
	;; [unrolled: 1-line block ×3, first 2 shown]
	v_sub_f32_e32 v19, v36, v39
	v_fmac_f32_e32 v18, 0x3f7c1c5c, v15
	v_add_f32_e32 v22, v35, v9
	v_mul_f32_e32 v9, 0xbf248dbb, v25
	v_sub_f32_e32 v16, v3, v10
	v_mul_f32_e32 v11, 0x3f248dbb, v13
	v_add_f32_e32 v17, v2, v6
	v_sub_f32_e32 v21, v4, v8
	v_sub_f32_e32 v26, v7, v20
	v_add_f32_e32 v27, v4, v8
	v_fmamk_f32 v4, v28, 0x3f441b7d, v0
	v_fmamk_f32 v5, v29, 0x3f441b7d, v1
	;; [unrolled: 1-line block ×3, first 2 shown]
	v_fmac_f32_e32 v18, 0x3f5db3d7, v19
	v_fmac_f32_e32 v9, 0x3f7c1c5c, v12
	;; [unrolled: 1-line block ×3, first 2 shown]
	v_add_f32_e32 v24, v36, v39
	v_mul_f32_e32 v8, 0xbf248dbb, v26
	v_fmac_f32_e32 v4, 0x3e31d0d4, v14
	v_fmac_f32_e32 v5, 0x3e31d0d4, v17
	;; [unrolled: 1-line block ×3, first 2 shown]
	v_add_f32_e32 v23, v3, v10
	v_fmac_f32_e32 v18, 0x3eaf1d44, v25
	v_fmac_f32_e32 v9, 0xbf5db3d7, v19
	v_add_f32_e32 v10, v25, v12
	v_mul_f32_e32 v25, 0x3f7c1c5c, v25
	v_fmac_f32_e32 v11, 0x3f5db3d7, v21
	v_fmamk_f32 v3, v17, 0x3f441b7d, v1
	v_fmac_f32_e32 v8, 0x3f7c1c5c, v13
	v_fmac_f32_e32 v4, -0.5, v24
	v_fmac_f32_e32 v5, -0.5, v27
	;; [unrolled: 1-line block ×3, first 2 shown]
	v_fmac_f32_e32 v9, 0x3eaf1d44, v15
	v_sub_f32_e32 v31, v10, v15
	v_fma_f32 v15, 0xbf248dbb, v15, -v25
	v_fmac_f32_e32 v11, 0x3eaf1d44, v26
	v_fmac_f32_e32 v3, 0x3e31d0d4, v23
	;; [unrolled: 1-line block ×5, first 2 shown]
	v_add_f32_e32 v30, v26, v13
	v_add_f32_e32 v32, v22, v14
	;; [unrolled: 1-line block ×3, first 2 shown]
	v_mul_f32_e32 v26, 0x3f7c1c5c, v26
	v_fmamk_f32 v22, v22, 0x3f441b7d, v0
	v_fmamk_f32 v23, v23, 0x3f441b7d, v1
	v_fmac_f32_e32 v2, 0xbf708fb2, v28
	v_fmac_f32_e32 v15, 0x3f5db3d7, v19
	;; [unrolled: 1-line block ×3, first 2 shown]
	v_sub_f32_e32 v30, v30, v16
	v_fma_f32 v16, 0xbf248dbb, v16, -v26
	v_fmac_f32_e32 v22, 0x3e31d0d4, v28
	v_fmac_f32_e32 v23, 0x3e31d0d4, v29
	v_sub_f32_e32 v2, v2, v11
	v_fmac_f32_e32 v15, 0x3eaf1d44, v12
	v_add_f32_e32 v12, v24, v32
	v_add_f32_e32 v19, v27, v34
	v_fmac_f32_e32 v16, 0x3f5db3d7, v21
	v_fmac_f32_e32 v22, -0.5, v24
	v_fmac_f32_e32 v23, -0.5, v27
	v_fma_f32 v6, 2.0, v11, v2
	v_add_f32_e32 v10, v24, v0
	v_add_f32_e32 v11, v27, v1
	;; [unrolled: 1-line block ×4, first 2 shown]
	v_fmac_f32_e32 v3, -0.5, v27
	v_add_f32_e32 v12, v37, v12
	v_add_f32_e32 v7, v7, v19
	v_fmac_f32_e32 v16, 0x3eaf1d44, v13
	v_fmac_f32_e32 v22, 0xbf708fb2, v14
	;; [unrolled: 1-line block ×3, first 2 shown]
	v_fmac_f32_e32 v10, -0.5, v35
	v_fmac_f32_e32 v11, -0.5, v36
	v_fmac_f32_e32 v3, 0xbf708fb2, v29
	v_add_f32_e32 v17, v38, v12
	v_add_f32_e32 v7, v20, v7
	v_sub_f32_e32 v12, v22, v16
	v_add_f32_e32 v13, v15, v23
	v_sub_f32_e32 v4, v4, v8
	v_add_f32_e32 v5, v9, v5
	v_mul_f32_e32 v33, 0x3f5db3d7, v31
	v_mul_f32_e32 v39, 0x3f5db3d7, v30
	v_fmac_f32_e32 v10, 0xbf5db3d7, v30
	v_fmac_f32_e32 v11, 0x3f5db3d7, v31
	v_add_f32_e32 v3, v18, v3
	v_add_f32_e32 v0, v17, v0
	;; [unrolled: 1-line block ×3, first 2 shown]
	v_fma_f32 v16, 2.0, v16, v12
	v_fma_f32 v17, -2.0, v15, v13
	v_fma_f32 v8, 2.0, v8, v4
	v_fma_f32 v9, -2.0, v9, v5
	;; [unrolled: 2-line block ×3, first 2 shown]
	v_fma_f32 v7, -2.0, v18, v3
	ds_write2_b64 v71, v[0:1], v[2:3] offset1:17
	ds_write2_b64 v71, v[4:5], v[10:11] offset0:34 offset1:51
	ds_write2_b64 v71, v[12:13], v[16:17] offset0:68 offset1:85
	;; [unrolled: 1-line block ×3, first 2 shown]
	ds_write_b64 v71, v[6:7] offset:1088
	s_waitcnt lgkmcnt(0)
	s_barrier
	buffer_gl0_inv
	s_and_b32 exec_lo, exec_lo, vcc_lo
	s_cbranch_execz .LBB0_15
; %bb.14:
	global_load_dwordx2 v[0:1], v66, s[6:7]
	ds_read_b64 v[2:3], v71
	s_mov_b32 s4, 0x1ac5701b
	s_mov_b32 s5, 0x3f7ac570
	v_mad_u64_u32 v[6:7], null, s0, v68, 0
	s_mul_hi_u32 s8, s0, 0x48
	s_waitcnt vmcnt(0) lgkmcnt(0)
	v_mul_f32_e32 v4, v3, v1
	v_mul_f32_e32 v1, v2, v1
	v_fmac_f32_e32 v4, v2, v0
	v_fma_f32 v2, v0, v3, -v1
	v_cvt_f64_f32_e32 v[0:1], v4
	v_cvt_f64_f32_e32 v[2:3], v2
	v_mad_u64_u32 v[4:5], null, s2, v48, 0
	s_mul_i32 s2, s1, 0x48
	s_add_i32 s2, s8, s2
	v_mad_u64_u32 v[8:9], null, s3, v48, v[5:6]
	s_mul_i32 s3, s0, 0x48
	v_mad_u64_u32 v[9:10], null, s1, v68, v[7:8]
	v_mov_b32_e32 v5, v8
	v_lshl_add_u32 v10, v67, 3, v66
	v_mul_f64 v[0:1], v[0:1], s[4:5]
	v_mul_f64 v[2:3], v[2:3], s[4:5]
	v_mov_b32_e32 v7, v9
	v_cvt_f32_f64_e32 v0, v[0:1]
	v_cvt_f32_f64_e32 v1, v[2:3]
	v_lshlrev_b64 v[2:3], 3, v[4:5]
	v_lshlrev_b64 v[4:5], 3, v[6:7]
	v_add_co_u32 v8, vcc_lo, s12, v2
	v_add_co_ci_u32_e32 v9, vcc_lo, s13, v3, vcc_lo
	v_add_co_u32 v4, vcc_lo, v8, v4
	v_add_co_ci_u32_e32 v5, vcc_lo, v9, v5, vcc_lo
	global_store_dwordx2 v[4:5], v[0:1], off
	global_load_dwordx2 v[6:7], v66, s[6:7] offset:72
	ds_read2_b64 v[0:3], v10 offset0:9 offset1:18
	v_add_co_u32 v4, vcc_lo, v4, s3
	v_add_co_ci_u32_e32 v5, vcc_lo, s2, v5, vcc_lo
	s_waitcnt vmcnt(0) lgkmcnt(0)
	v_mul_f32_e32 v11, v1, v7
	v_mul_f32_e32 v7, v0, v7
	v_fmac_f32_e32 v11, v0, v6
	v_fma_f32 v6, v6, v1, -v7
	v_cvt_f64_f32_e32 v[0:1], v11
	v_cvt_f64_f32_e32 v[6:7], v6
	v_mul_f64 v[0:1], v[0:1], s[4:5]
	v_mul_f64 v[6:7], v[6:7], s[4:5]
	v_cvt_f32_f64_e32 v0, v[0:1]
	v_cvt_f32_f64_e32 v1, v[6:7]
	global_store_dwordx2 v[4:5], v[0:1], off
	global_load_dwordx2 v[0:1], v66, s[6:7] offset:144
	v_add_co_u32 v4, vcc_lo, v4, s3
	v_add_co_ci_u32_e32 v5, vcc_lo, s2, v5, vcc_lo
	s_waitcnt vmcnt(0)
	v_mul_f32_e32 v6, v3, v1
	v_mul_f32_e32 v1, v2, v1
	v_fmac_f32_e32 v6, v2, v0
	v_fma_f32 v2, v0, v3, -v1
	v_cvt_f64_f32_e32 v[0:1], v6
	v_cvt_f64_f32_e32 v[2:3], v2
	v_mul_f64 v[0:1], v[0:1], s[4:5]
	v_mul_f64 v[2:3], v[2:3], s[4:5]
	v_cvt_f32_f64_e32 v0, v[0:1]
	v_cvt_f32_f64_e32 v1, v[2:3]
	global_store_dwordx2 v[4:5], v[0:1], off
	global_load_dwordx2 v[6:7], v66, s[6:7] offset:216
	ds_read2_b64 v[0:3], v10 offset0:27 offset1:36
	v_add_co_u32 v4, vcc_lo, v4, s3
	v_add_co_ci_u32_e32 v5, vcc_lo, s2, v5, vcc_lo
	s_waitcnt vmcnt(0) lgkmcnt(0)
	v_mul_f32_e32 v11, v1, v7
	v_mul_f32_e32 v7, v0, v7
	v_fmac_f32_e32 v11, v0, v6
	v_fma_f32 v6, v6, v1, -v7
	v_cvt_f64_f32_e32 v[0:1], v11
	v_cvt_f64_f32_e32 v[6:7], v6
	v_mul_f64 v[0:1], v[0:1], s[4:5]
	v_mul_f64 v[6:7], v[6:7], s[4:5]
	v_cvt_f32_f64_e32 v0, v[0:1]
	v_cvt_f32_f64_e32 v1, v[6:7]
	global_store_dwordx2 v[4:5], v[0:1], off
	global_load_dwordx2 v[0:1], v66, s[6:7] offset:288
	v_add_co_u32 v4, vcc_lo, v4, s3
	v_add_co_ci_u32_e32 v5, vcc_lo, s2, v5, vcc_lo
	s_waitcnt vmcnt(0)
	v_mul_f32_e32 v6, v3, v1
	v_mul_f32_e32 v1, v2, v1
	v_fmac_f32_e32 v6, v2, v0
	v_fma_f32 v2, v0, v3, -v1
	v_cvt_f64_f32_e32 v[0:1], v6
	v_cvt_f64_f32_e32 v[2:3], v2
	v_mul_f64 v[0:1], v[0:1], s[4:5]
	v_mul_f64 v[2:3], v[2:3], s[4:5]
	v_cvt_f32_f64_e32 v0, v[0:1]
	v_cvt_f32_f64_e32 v1, v[2:3]
	;; [unrolled: 31-line block ×7, first 2 shown]
	global_store_dwordx2 v[4:5], v[0:1], off
	global_load_dwordx2 v[6:7], v66, s[6:7] offset:1080
	ds_read2_b64 v[0:3], v10 offset0:135 offset1:144
	v_add_co_u32 v4, vcc_lo, v4, s3
	v_add_co_ci_u32_e32 v5, vcc_lo, s2, v5, vcc_lo
	s_waitcnt vmcnt(0) lgkmcnt(0)
	v_mul_f32_e32 v10, v1, v7
	v_mul_f32_e32 v7, v0, v7
	v_fmac_f32_e32 v10, v0, v6
	v_fma_f32 v6, v6, v1, -v7
	v_cvt_f64_f32_e32 v[0:1], v10
	v_cvt_f64_f32_e32 v[6:7], v6
	v_mul_f64 v[0:1], v[0:1], s[4:5]
	v_mul_f64 v[6:7], v[6:7], s[4:5]
	v_cvt_f32_f64_e32 v0, v[0:1]
	v_cvt_f32_f64_e32 v1, v[6:7]
	global_store_dwordx2 v[4:5], v[0:1], off
	global_load_dwordx2 v[0:1], v66, s[6:7] offset:1152
	s_waitcnt vmcnt(0)
	v_mul_f32_e32 v4, v3, v1
	v_mul_f32_e32 v1, v2, v1
	v_fmac_f32_e32 v4, v2, v0
	v_fma_f32 v2, v0, v3, -v1
	v_cvt_f64_f32_e32 v[0:1], v4
	v_cvt_f64_f32_e32 v[2:3], v2
	v_mad_u64_u32 v[4:5], null, s0, v219, 0
	v_mad_u64_u32 v[5:6], null, s1, v219, v[5:6]
	v_mul_f64 v[0:1], v[0:1], s[4:5]
	v_mul_f64 v[2:3], v[2:3], s[4:5]
	v_cvt_f32_f64_e32 v0, v[0:1]
	v_cvt_f32_f64_e32 v1, v[2:3]
	v_lshlrev_b64 v[2:3], 3, v[4:5]
	v_add_co_u32 v2, vcc_lo, v8, v2
	v_add_co_ci_u32_e32 v3, vcc_lo, v9, v3, vcc_lo
	global_store_dwordx2 v[2:3], v[0:1], off
.LBB0_15:
	s_endpgm
	.section	.rodata,"a",@progbits
	.p2align	6, 0x0
	.amdhsa_kernel bluestein_single_fwd_len153_dim1_sp_op_CI_CI
		.amdhsa_group_segment_fixed_size 8568
		.amdhsa_private_segment_fixed_size 8
		.amdhsa_kernarg_size 104
		.amdhsa_user_sgpr_count 6
		.amdhsa_user_sgpr_private_segment_buffer 1
		.amdhsa_user_sgpr_dispatch_ptr 0
		.amdhsa_user_sgpr_queue_ptr 0
		.amdhsa_user_sgpr_kernarg_segment_ptr 1
		.amdhsa_user_sgpr_dispatch_id 0
		.amdhsa_user_sgpr_flat_scratch_init 0
		.amdhsa_user_sgpr_private_segment_size 0
		.amdhsa_wavefront_size32 1
		.amdhsa_uses_dynamic_stack 0
		.amdhsa_system_sgpr_private_segment_wavefront_offset 1
		.amdhsa_system_sgpr_workgroup_id_x 1
		.amdhsa_system_sgpr_workgroup_id_y 0
		.amdhsa_system_sgpr_workgroup_id_z 0
		.amdhsa_system_sgpr_workgroup_info 0
		.amdhsa_system_vgpr_workitem_id 0
		.amdhsa_next_free_vgpr 256
		.amdhsa_next_free_sgpr 20
		.amdhsa_reserve_vcc 1
		.amdhsa_reserve_flat_scratch 0
		.amdhsa_float_round_mode_32 0
		.amdhsa_float_round_mode_16_64 0
		.amdhsa_float_denorm_mode_32 3
		.amdhsa_float_denorm_mode_16_64 3
		.amdhsa_dx10_clamp 1
		.amdhsa_ieee_mode 1
		.amdhsa_fp16_overflow 0
		.amdhsa_workgroup_processor_mode 1
		.amdhsa_memory_ordered 1
		.amdhsa_forward_progress 0
		.amdhsa_shared_vgpr_count 0
		.amdhsa_exception_fp_ieee_invalid_op 0
		.amdhsa_exception_fp_denorm_src 0
		.amdhsa_exception_fp_ieee_div_zero 0
		.amdhsa_exception_fp_ieee_overflow 0
		.amdhsa_exception_fp_ieee_underflow 0
		.amdhsa_exception_fp_ieee_inexact 0
		.amdhsa_exception_int_div_zero 0
	.end_amdhsa_kernel
	.text
.Lfunc_end0:
	.size	bluestein_single_fwd_len153_dim1_sp_op_CI_CI, .Lfunc_end0-bluestein_single_fwd_len153_dim1_sp_op_CI_CI
                                        ; -- End function
	.section	.AMDGPU.csdata,"",@progbits
; Kernel info:
; codeLenInByte = 15908
; NumSgprs: 22
; NumVgprs: 256
; ScratchSize: 8
; MemoryBound: 0
; FloatMode: 240
; IeeeMode: 1
; LDSByteSize: 8568 bytes/workgroup (compile time only)
; SGPRBlocks: 2
; VGPRBlocks: 31
; NumSGPRsForWavesPerEU: 22
; NumVGPRsForWavesPerEU: 256
; Occupancy: 4
; WaveLimiterHint : 1
; COMPUTE_PGM_RSRC2:SCRATCH_EN: 1
; COMPUTE_PGM_RSRC2:USER_SGPR: 6
; COMPUTE_PGM_RSRC2:TRAP_HANDLER: 0
; COMPUTE_PGM_RSRC2:TGID_X_EN: 1
; COMPUTE_PGM_RSRC2:TGID_Y_EN: 0
; COMPUTE_PGM_RSRC2:TGID_Z_EN: 0
; COMPUTE_PGM_RSRC2:TIDIG_COMP_CNT: 0
	.text
	.p2alignl 6, 3214868480
	.fill 48, 4, 3214868480
	.type	__hip_cuid_1f4136732ab64b9c,@object ; @__hip_cuid_1f4136732ab64b9c
	.section	.bss,"aw",@nobits
	.globl	__hip_cuid_1f4136732ab64b9c
__hip_cuid_1f4136732ab64b9c:
	.byte	0                               ; 0x0
	.size	__hip_cuid_1f4136732ab64b9c, 1

	.ident	"AMD clang version 19.0.0git (https://github.com/RadeonOpenCompute/llvm-project roc-6.4.0 25133 c7fe45cf4b819c5991fe208aaa96edf142730f1d)"
	.section	".note.GNU-stack","",@progbits
	.addrsig
	.addrsig_sym __hip_cuid_1f4136732ab64b9c
	.amdgpu_metadata
---
amdhsa.kernels:
  - .args:
      - .actual_access:  read_only
        .address_space:  global
        .offset:         0
        .size:           8
        .value_kind:     global_buffer
      - .actual_access:  read_only
        .address_space:  global
        .offset:         8
        .size:           8
        .value_kind:     global_buffer
      - .actual_access:  read_only
        .address_space:  global
        .offset:         16
        .size:           8
        .value_kind:     global_buffer
      - .actual_access:  read_only
        .address_space:  global
        .offset:         24
        .size:           8
        .value_kind:     global_buffer
      - .actual_access:  read_only
        .address_space:  global
        .offset:         32
        .size:           8
        .value_kind:     global_buffer
      - .offset:         40
        .size:           8
        .value_kind:     by_value
      - .address_space:  global
        .offset:         48
        .size:           8
        .value_kind:     global_buffer
      - .address_space:  global
        .offset:         56
        .size:           8
        .value_kind:     global_buffer
      - .address_space:  global
        .offset:         64
        .size:           8
        .value_kind:     global_buffer
      - .address_space:  global
        .offset:         72
        .size:           8
        .value_kind:     global_buffer
      - .offset:         80
        .size:           4
        .value_kind:     by_value
      - .address_space:  global
        .offset:         88
        .size:           8
        .value_kind:     global_buffer
      - .address_space:  global
        .offset:         96
        .size:           8
        .value_kind:     global_buffer
    .group_segment_fixed_size: 8568
    .kernarg_segment_align: 8
    .kernarg_segment_size: 104
    .language:       OpenCL C
    .language_version:
      - 2
      - 0
    .max_flat_workgroup_size: 119
    .name:           bluestein_single_fwd_len153_dim1_sp_op_CI_CI
    .private_segment_fixed_size: 8
    .sgpr_count:     22
    .sgpr_spill_count: 0
    .symbol:         bluestein_single_fwd_len153_dim1_sp_op_CI_CI.kd
    .uniform_work_group_size: 1
    .uses_dynamic_stack: false
    .vgpr_count:     256
    .vgpr_spill_count: 1
    .wavefront_size: 32
    .workgroup_processor_mode: 1
amdhsa.target:   amdgcn-amd-amdhsa--gfx1030
amdhsa.version:
  - 1
  - 2
...

	.end_amdgpu_metadata
